;; amdgpu-corpus repo=ROCm/rocFFT kind=compiled arch=gfx906 opt=O3
	.text
	.amdgcn_target "amdgcn-amd-amdhsa--gfx906"
	.amdhsa_code_object_version 6
	.protected	bluestein_single_back_len455_dim1_sp_op_CI_CI ; -- Begin function bluestein_single_back_len455_dim1_sp_op_CI_CI
	.globl	bluestein_single_back_len455_dim1_sp_op_CI_CI
	.p2align	8
	.type	bluestein_single_back_len455_dim1_sp_op_CI_CI,@function
bluestein_single_back_len455_dim1_sp_op_CI_CI: ; @bluestein_single_back_len455_dim1_sp_op_CI_CI
; %bb.0:
	v_mul_u32_u24_e32 v1, 0x3f1, v0
	s_load_dwordx4 s[0:3], s[4:5], 0x28
	v_lshrrev_b32_e32 v1, 16, v1
	v_mad_u64_u32 v[60:61], s[6:7], s6, 3, v[1:2]
	v_mov_b32_e32 v61, 0
	s_waitcnt lgkmcnt(0)
	v_cmp_gt_u64_e32 vcc, s[0:1], v[60:61]
	s_and_saveexec_b64 s[0:1], vcc
	s_cbranch_execz .LBB0_23
; %bb.1:
	s_mov_b32 s0, 0xaaaaaaab
	v_mul_hi_u32 v2, v60, s0
	v_mul_lo_u16_e32 v1, 0x41, v1
	s_load_dwordx2 s[12:13], s[4:5], 0x0
	s_load_dwordx2 s[14:15], s[4:5], 0x38
	v_sub_u16_e32 v66, v0, v1
	v_lshrrev_b32_e32 v0, 1, v2
	v_lshl_add_u32 v0, v0, 1, v0
	v_sub_u32_e32 v0, v60, v0
	v_mul_u32_u24_e32 v42, 0x1c7, v0
	v_cmp_gt_u16_e32 vcc, 35, v66
	v_lshlrev_b32_e32 v65, 3, v66
	v_lshlrev_b32_e32 v67, 3, v42
	s_and_saveexec_b64 s[6:7], vcc
	s_cbranch_execz .LBB0_3
; %bb.2:
	s_load_dwordx2 s[0:1], s[4:5], 0x18
	s_waitcnt lgkmcnt(0)
	s_load_dwordx4 s[8:11], s[0:1], 0x0
	s_waitcnt lgkmcnt(0)
	v_mad_u64_u32 v[0:1], s[0:1], s10, v60, 0
	v_mad_u64_u32 v[2:3], s[0:1], s8, v66, 0
	;; [unrolled: 1-line block ×4, first 2 shown]
	v_mov_b32_e32 v1, v4
	v_lshlrev_b64 v[0:1], 3, v[0:1]
	v_mov_b32_e32 v3, v5
	v_mov_b32_e32 v6, s3
	v_lshlrev_b64 v[2:3], 3, v[2:3]
	v_add_co_u32_e64 v0, s[0:1], s2, v0
	v_addc_co_u32_e64 v1, s[0:1], v6, v1, s[0:1]
	v_add_co_u32_e64 v0, s[0:1], v0, v2
	v_addc_co_u32_e64 v1, s[0:1], v1, v3, s[0:1]
	s_mul_i32 s0, s9, 0x118
	s_mul_hi_u32 s1, s8, 0x118
	s_mul_i32 s2, s8, 0x118
	s_add_i32 s3, s1, s0
	v_mov_b32_e32 v11, s3
	v_add_co_u32_e64 v10, s[0:1], s2, v0
	v_addc_co_u32_e64 v11, s[0:1], v1, v11, s[0:1]
	v_mov_b32_e32 v13, s3
	v_add_co_u32_e64 v12, s[0:1], s2, v10
	v_addc_co_u32_e64 v13, s[0:1], v11, v13, s[0:1]
	;; [unrolled: 3-line block ×3, first 2 shown]
	global_load_dwordx2 v[2:3], v65, s[12:13]
	global_load_dwordx2 v[4:5], v65, s[12:13] offset:280
	global_load_dwordx2 v[6:7], v65, s[12:13] offset:560
	;; [unrolled: 1-line block ×3, first 2 shown]
	v_mov_b32_e32 v24, s3
	global_load_dwordx2 v[16:17], v[0:1], off
	global_load_dwordx2 v[18:19], v[10:11], off
	;; [unrolled: 1-line block ×4, first 2 shown]
	v_add_co_u32_e64 v0, s[0:1], s2, v14
	v_addc_co_u32_e64 v1, s[0:1], v15, v24, s[0:1]
	v_mov_b32_e32 v25, s3
	global_load_dwordx2 v[10:11], v[0:1], off
	v_add_co_u32_e64 v0, s[0:1], s2, v0
	v_addc_co_u32_e64 v1, s[0:1], v1, v25, s[0:1]
	v_mov_b32_e32 v26, s3
	global_load_dwordx2 v[12:13], v[0:1], off
	v_add_co_u32_e64 v0, s[0:1], s2, v0
	v_addc_co_u32_e64 v1, s[0:1], v1, v26, s[0:1]
	global_load_dwordx2 v[14:15], v[0:1], off
	v_add_co_u32_e64 v0, s[0:1], s2, v0
	v_addc_co_u32_e64 v1, s[0:1], v1, v24, s[0:1]
	global_load_dwordx2 v[24:25], v65, s[12:13] offset:1120
	global_load_dwordx2 v[26:27], v65, s[12:13] offset:1400
	global_load_dwordx2 v[28:29], v65, s[12:13] offset:1680
	global_load_dwordx2 v[30:31], v65, s[12:13] offset:1960
	global_load_dwordx2 v[32:33], v[0:1], off
	v_mov_b32_e32 v34, s3
	v_add_co_u32_e64 v0, s[0:1], s2, v0
	v_addc_co_u32_e64 v1, s[0:1], v1, v34, s[0:1]
	global_load_dwordx2 v[34:35], v[0:1], off
	global_load_dwordx2 v[36:37], v65, s[12:13] offset:2240
	v_mov_b32_e32 v38, s3
	v_add_co_u32_e64 v0, s[0:1], s2, v0
	v_addc_co_u32_e64 v1, s[0:1], v1, v38, s[0:1]
	global_load_dwordx2 v[38:39], v[0:1], off
	v_mov_b32_e32 v40, s3
	v_add_co_u32_e64 v0, s[0:1], s2, v0
	v_addc_co_u32_e64 v1, s[0:1], v1, v40, s[0:1]
	global_load_dwordx2 v[40:41], v[0:1], off
	global_load_dwordx2 v[43:44], v65, s[12:13] offset:2520
	global_load_dwordx2 v[45:46], v65, s[12:13] offset:2800
	v_mov_b32_e32 v47, s3
	v_add_co_u32_e64 v0, s[0:1], s2, v0
	v_addc_co_u32_e64 v1, s[0:1], v1, v47, s[0:1]
	global_load_dwordx2 v[47:48], v[0:1], off
	global_load_dwordx2 v[49:50], v65, s[12:13] offset:3080
	v_mov_b32_e32 v51, s3
	v_add_co_u32_e64 v0, s[0:1], s2, v0
	v_addc_co_u32_e64 v1, s[0:1], v1, v51, s[0:1]
	global_load_dwordx2 v[51:52], v[0:1], off
	global_load_dwordx2 v[53:54], v65, s[12:13] offset:3360
	s_waitcnt vmcnt(21)
	v_mul_f32_e32 v0, v17, v3
	v_mul_f32_e32 v1, v16, v3
	v_fmac_f32_e32 v0, v16, v2
	v_fma_f32 v1, v17, v2, -v1
	v_lshl_add_u32 v2, v66, 3, v67
	ds_write_b64 v2, v[0:1]
	s_waitcnt vmcnt(20)
	v_mul_f32_e32 v0, v18, v5
	v_fma_f32 v1, v19, v4, -v0
	v_mul_f32_e32 v0, v19, v5
	s_waitcnt vmcnt(19)
	v_mul_f32_e32 v2, v21, v7
	v_mul_f32_e32 v3, v20, v7
	v_add_u32_e32 v16, v67, v65
	v_fmac_f32_e32 v0, v18, v4
	v_fmac_f32_e32 v2, v20, v6
	v_fma_f32 v3, v21, v6, -v3
	s_waitcnt vmcnt(18)
	v_mul_f32_e32 v4, v23, v9
	v_mul_f32_e32 v5, v22, v9
	ds_write2_b64 v16, v[0:1], v[2:3] offset0:35 offset1:70
	v_fmac_f32_e32 v4, v22, v8
	v_fma_f32 v5, v23, v8, -v5
	s_waitcnt vmcnt(14)
	v_mul_f32_e32 v0, v11, v25
	v_mul_f32_e32 v1, v10, v25
	v_fmac_f32_e32 v0, v10, v24
	v_fma_f32 v1, v11, v24, -v1
	s_waitcnt vmcnt(13)
	v_mul_f32_e32 v2, v13, v27
	v_mul_f32_e32 v3, v12, v27
	ds_write2_b64 v16, v[4:5], v[0:1] offset0:105 offset1:140
	s_waitcnt vmcnt(12)
	v_mul_f32_e32 v0, v15, v29
	v_mul_f32_e32 v1, v14, v29
	v_fmac_f32_e32 v2, v12, v26
	v_fma_f32 v3, v13, v26, -v3
	v_fmac_f32_e32 v0, v14, v28
	v_fma_f32 v1, v15, v28, -v1
	ds_write2_b64 v16, v[2:3], v[0:1] offset0:175 offset1:210
	s_waitcnt vmcnt(10)
	v_mul_f32_e32 v0, v33, v31
	v_mul_f32_e32 v1, v32, v31
	s_waitcnt vmcnt(8)
	v_mul_f32_e32 v2, v35, v37
	v_mul_f32_e32 v3, v34, v37
	v_fmac_f32_e32 v0, v32, v30
	v_fma_f32 v1, v33, v30, -v1
	v_fmac_f32_e32 v2, v34, v36
	v_fma_f32 v3, v35, v36, -v3
	v_add_u32_e32 v4, 0x400, v16
	ds_write2_b64 v4, v[0:1], v[2:3] offset0:117 offset1:152
	s_waitcnt vmcnt(5)
	v_mul_f32_e32 v0, v39, v44
	v_mul_f32_e32 v1, v38, v44
	s_waitcnt vmcnt(4)
	v_mul_f32_e32 v2, v41, v46
	v_mul_f32_e32 v3, v40, v46
	v_fmac_f32_e32 v0, v38, v43
	v_fma_f32 v1, v39, v43, -v1
	v_fmac_f32_e32 v2, v40, v45
	v_fma_f32 v3, v41, v45, -v3
	v_add_u32_e32 v4, 0x800, v16
	ds_write2_b64 v4, v[0:1], v[2:3] offset0:59 offset1:94
	s_waitcnt vmcnt(2)
	v_mul_f32_e32 v0, v48, v50
	v_mul_f32_e32 v1, v47, v50
	s_waitcnt vmcnt(0)
	v_mul_f32_e32 v2, v52, v54
	v_mul_f32_e32 v3, v51, v54
	v_fmac_f32_e32 v0, v47, v49
	v_fma_f32 v1, v48, v49, -v1
	v_fmac_f32_e32 v2, v51, v53
	v_fma_f32 v3, v52, v53, -v3
	ds_write2_b64 v4, v[0:1], v[2:3] offset0:129 offset1:164
.LBB0_3:
	s_or_b64 exec, exec, s[6:7]
	v_mov_b32_e32 v4, 0
	v_mov_b32_e32 v5, 0
	s_waitcnt lgkmcnt(0)
	s_barrier
	s_waitcnt lgkmcnt(0)
                                        ; implicit-def: $vgpr10
                                        ; implicit-def: $vgpr16
                                        ; implicit-def: $vgpr24
                                        ; implicit-def: $vgpr28
                                        ; implicit-def: $vgpr22
                                        ; implicit-def: $vgpr14
	s_and_saveexec_b64 s[0:1], vcc
	s_cbranch_execz .LBB0_5
; %bb.4:
	v_lshl_add_u32 v0, v42, 3, v65
	ds_read2_b64 v[4:7], v0 offset1:35
	ds_read2_b64 v[12:15], v0 offset0:70 offset1:105
	ds_read2_b64 v[20:23], v0 offset0:140 offset1:175
	;; [unrolled: 1-line block ×3, first 2 shown]
	v_add_u32_e32 v1, 0x800, v0
	ds_read2_b64 v[16:19], v1 offset0:24 offset1:59
	ds_read2_b64 v[24:27], v1 offset0:94 offset1:129
	ds_read_b64 v[28:29], v0 offset:3360
.LBB0_5:
	s_or_b64 exec, exec, s[0:1]
	s_waitcnt lgkmcnt(0)
	v_sub_f32_e32 v38, v7, v29
	v_mul_f32_e32 v43, 0xbeedf032, v38
	v_sub_f32_e32 v39, v13, v27
	v_add_f32_e32 v49, v28, v6
	v_mov_b32_e32 v0, v43
	v_mul_f32_e32 v44, 0xbf52af12, v39
	v_fmac_f32_e32 v0, 0x3f62ad3f, v49
	v_add_f32_e32 v53, v26, v12
	v_mov_b32_e32 v1, v44
	v_sub_f32_e32 v40, v6, v28
	v_add_f32_e32 v50, v29, v7
	v_add_f32_e32 v0, v0, v4
	v_fmac_f32_e32 v1, 0x3f116cb1, v53
	s_mov_b32 s1, 0x3f62ad3f
	v_mul_f32_e32 v45, 0xbeedf032, v40
	v_sub_f32_e32 v41, v12, v26
	v_add_f32_e32 v0, v1, v0
	v_fma_f32 v1, v50, s1, -v45
	s_mov_b32 s0, 0x3f116cb1
	v_add_f32_e32 v54, v27, v13
	v_mul_f32_e32 v46, 0xbf52af12, v41
	v_sub_f32_e32 v69, v15, v25
	v_add_f32_e32 v1, v1, v5
	v_fma_f32 v2, v54, s0, -v46
	v_mul_f32_e32 v47, 0xbf7e222b, v69
	v_add_f32_e32 v1, v2, v1
	v_add_f32_e32 v57, v24, v14
	v_mov_b32_e32 v2, v47
	v_sub_f32_e32 v108, v14, v24
	v_fmac_f32_e32 v2, 0x3df6dbef, v57
	s_mov_b32 s2, 0x3df6dbef
	v_add_f32_e32 v58, v25, v15
	v_mul_f32_e32 v48, 0xbf7e222b, v108
	v_sub_f32_e32 v109, v21, v19
	v_add_f32_e32 v0, v2, v0
	v_fma_f32 v2, v58, s2, -v48
	v_mul_f32_e32 v51, 0xbf6f5d39, v109
	v_add_f32_e32 v1, v2, v1
	v_add_f32_e32 v59, v18, v20
	v_mov_b32_e32 v2, v51
	v_sub_f32_e32 v110, v20, v18
	v_fmac_f32_e32 v2, 0xbeb58ec6, v59
	;; [unrolled: 12-line block ×3, first 2 shown]
	s_mov_b32 s6, 0xbf3f9e67
	v_add_f32_e32 v68, v17, v23
	v_mul_f32_e32 v56, 0xbf29c268, v112
	v_sub_f32_e32 v113, v9, v11
	v_add_f32_e32 v0, v2, v0
	v_fma_f32 v2, v68, s6, -v56
	v_mul_f32_e32 v62, 0xbe750f2a, v113
	v_add_f32_e32 v1, v2, v1
	v_add_f32_e32 v79, v10, v8
	v_mov_b32_e32 v2, v62
	v_sub_f32_e32 v114, v8, v10
	s_mov_b32 s7, 0xbf788fa5
	v_fmac_f32_e32 v2, 0xbf788fa5, v79
	v_add_f32_e32 v81, v11, v9
	v_mul_f32_e32 v63, 0xbe750f2a, v114
	v_mul_f32_e32 v70, 0xbf52af12, v38
	v_fma_f32 v3, v81, s7, -v63
	v_add_f32_e32 v2, v2, v0
	v_mov_b32_e32 v0, v70
	v_mul_f32_e32 v71, 0xbf6f5d39, v39
	v_add_f32_e32 v3, v3, v1
	v_fmac_f32_e32 v0, 0x3f116cb1, v49
	v_mov_b32_e32 v1, v71
	v_add_f32_e32 v0, v0, v4
	v_fmac_f32_e32 v1, 0xbeb58ec6, v53
	v_mul_f32_e32 v74, 0xbf52af12, v40
	v_add_f32_e32 v0, v1, v0
	v_fma_f32 v1, v50, s0, -v74
	v_mul_f32_e32 v76, 0xbf6f5d39, v41
	v_add_f32_e32 v1, v1, v5
	v_fma_f32 v30, v54, s3, -v76
	v_mul_f32_e32 v72, 0xbe750f2a, v69
	v_add_f32_e32 v1, v30, v1
	v_mov_b32_e32 v30, v72
	v_fmac_f32_e32 v30, 0xbf788fa5, v57
	v_mul_f32_e32 v78, 0xbe750f2a, v108
	v_add_f32_e32 v0, v30, v0
	v_fma_f32 v30, v58, s7, -v78
	v_mul_f32_e32 v73, 0x3f29c268, v109
	v_add_f32_e32 v1, v30, v1
	v_mov_b32_e32 v30, v73
	v_fmac_f32_e32 v30, 0xbf3f9e67, v59
	;; [unrolled: 7-line block ×4, first 2 shown]
	v_mul_f32_e32 v83, 0x3eedf032, v114
	v_add_f32_e32 v0, v30, v0
	v_fma_f32 v30, v81, s1, -v83
	v_mul_f32_e32 v84, 0xbf7e222b, v38
	v_add_f32_e32 v1, v30, v1
	v_mov_b32_e32 v30, v84
	v_mul_f32_e32 v85, 0xbe750f2a, v39
	v_fmac_f32_e32 v30, 0x3df6dbef, v49
	v_mov_b32_e32 v31, v85
	v_add_f32_e32 v30, v30, v4
	v_fmac_f32_e32 v31, 0xbf788fa5, v53
	v_mul_f32_e32 v88, 0xbf7e222b, v40
	v_add_f32_e32 v30, v31, v30
	v_fma_f32 v31, v50, s2, -v88
	v_mul_f32_e32 v90, 0xbe750f2a, v41
	v_add_f32_e32 v31, v31, v5
	v_fma_f32 v32, v54, s7, -v90
	v_mul_f32_e32 v86, 0x3f6f5d39, v69
	v_add_f32_e32 v31, v32, v31
	v_mov_b32_e32 v32, v86
	v_fmac_f32_e32 v32, 0xbeb58ec6, v57
	v_mul_f32_e32 v92, 0x3f6f5d39, v108
	v_add_f32_e32 v30, v32, v30
	v_fma_f32 v32, v58, s3, -v92
	v_mul_f32_e32 v87, 0x3eedf032, v109
	v_add_f32_e32 v31, v32, v31
	v_mov_b32_e32 v32, v87
	v_fmac_f32_e32 v32, 0x3f62ad3f, v59
	;; [unrolled: 7-line block ×4, first 2 shown]
	v_mul_f32_e32 v95, 0xbf29c268, v114
	v_add_f32_e32 v34, v32, v30
	v_fma_f32 v30, v81, s6, -v95
	v_mul_f32_e32 v96, 0xbf6f5d39, v38
	v_add_f32_e32 v35, v30, v31
	v_mov_b32_e32 v30, v96
	v_mul_f32_e32 v97, 0x3f29c268, v39
	v_fmac_f32_e32 v30, 0xbeb58ec6, v49
	v_mov_b32_e32 v31, v97
	v_add_f32_e32 v30, v30, v4
	v_fmac_f32_e32 v31, 0xbf3f9e67, v53
	v_mul_f32_e32 v102, 0xbf6f5d39, v40
	v_add_f32_e32 v30, v31, v30
	v_fma_f32 v31, v50, s3, -v102
	v_mul_f32_e32 v103, 0x3f29c268, v41
	v_add_f32_e32 v31, v31, v5
	v_fma_f32 v32, v54, s6, -v103
	v_mul_f32_e32 v98, 0x3eedf032, v69
	v_add_f32_e32 v31, v32, v31
	v_mov_b32_e32 v32, v98
	v_fmac_f32_e32 v32, 0x3f62ad3f, v57
	v_mul_f32_e32 v104, 0x3eedf032, v108
	v_add_f32_e32 v30, v32, v30
	v_fma_f32 v32, v58, s1, -v104
	v_mul_f32_e32 v99, 0xbf7e222b, v109
	v_add_f32_e32 v31, v32, v31
	v_mov_b32_e32 v32, v99
	v_fmac_f32_e32 v32, 0x3df6dbef, v59
	v_mul_f32_e32 v105, 0xbf7e222b, v110
	v_add_f32_e32 v30, v32, v30
	v_fma_f32 v32, v61, s2, -v105
	v_mul_f32_e32 v100, 0x3e750f2a, v111
	v_add_f32_e32 v31, v32, v31
	v_mov_b32_e32 v32, v100
	v_fmac_f32_e32 v32, 0xbf788fa5, v64
	v_mul_f32_e32 v106, 0x3e750f2a, v112
	v_add_f32_e32 v30, v32, v30
	v_fma_f32 v32, v68, s7, -v106
	v_mul_f32_e32 v101, 0x3f52af12, v113
	v_add_f32_e32 v31, v32, v31
	v_mov_b32_e32 v32, v101
	v_fmac_f32_e32 v32, 0x3f116cb1, v79
	v_mul_f32_e32 v107, 0x3f52af12, v114
	v_add_f32_e32 v32, v32, v30
	v_fma_f32 v30, v81, s0, -v107
	v_mul_f32_e32 v36, 0xbf29c268, v38
	v_add_f32_e32 v33, v30, v31
	v_fma_f32 v30, v49, s6, -v36
	;; [unrolled: 3-line block ×3, first 2 shown]
	v_mul_f32_e32 v115, 0xbf29c268, v40
	v_add_f32_e32 v30, v31, v30
	v_mov_b32_e32 v31, v115
	v_mul_f32_e32 v116, 0x3f7e222b, v41
	v_fmac_f32_e32 v31, 0xbf3f9e67, v50
	v_mov_b32_e32 v117, v116
	v_add_f32_e32 v31, v31, v5
	v_fmac_f32_e32 v117, 0x3df6dbef, v54
	v_add_f32_e32 v31, v117, v31
	v_mul_f32_e32 v117, 0xbf52af12, v69
	v_fma_f32 v118, v57, s0, -v117
	v_add_f32_e32 v30, v118, v30
	v_mul_f32_e32 v118, 0xbf52af12, v108
	v_mov_b32_e32 v119, v118
	v_fmac_f32_e32 v119, 0x3f116cb1, v58
	v_add_f32_e32 v31, v119, v31
	v_mul_f32_e32 v119, 0x3e750f2a, v109
	v_fma_f32 v120, v59, s7, -v119
	v_add_f32_e32 v30, v120, v30
	v_mul_f32_e32 v120, 0x3e750f2a, v110
	v_mov_b32_e32 v121, v120
	v_fmac_f32_e32 v121, 0xbf788fa5, v61
	v_add_f32_e32 v31, v121, v31
	v_mul_f32_e32 v121, 0x3eedf032, v111
	v_fma_f32 v122, v64, s1, -v121
	v_fmac_f32_e32 v36, 0xbf3f9e67, v49
	v_add_f32_e32 v30, v122, v30
	v_mul_f32_e32 v122, 0x3eedf032, v112
	v_add_f32_e32 v36, v36, v4
	v_fmac_f32_e32 v37, 0x3df6dbef, v53
	v_mov_b32_e32 v123, v122
	v_add_f32_e32 v36, v37, v36
	v_fma_f32 v37, v50, s6, -v115
	v_fmac_f32_e32 v123, 0x3f62ad3f, v68
	v_add_f32_e32 v37, v37, v5
	v_fma_f32 v115, v54, s2, -v116
	v_add_f32_e32 v31, v123, v31
	v_mul_f32_e32 v123, 0xbf6f5d39, v113
	v_add_f32_e32 v37, v115, v37
	v_fma_f32 v115, v58, s0, -v118
	v_fma_f32 v124, v79, s3, -v123
	v_add_f32_e32 v37, v115, v37
	v_fma_f32 v115, v61, s7, -v120
	v_add_f32_e32 v30, v124, v30
	v_mul_f32_e32 v124, 0xbf6f5d39, v114
	v_add_f32_e32 v37, v115, v37
	v_fma_f32 v115, v68, s1, -v122
	v_add_f32_e32 v37, v115, v37
	v_fma_f32 v115, v81, s3, -v124
	v_add_f32_e32 v37, v115, v37
	v_mul_f32_e32 v115, 0xbe750f2a, v38
	v_fma_f32 v38, v49, s7, -v115
	v_mul_f32_e32 v116, 0x3eedf032, v39
	v_add_f32_e32 v38, v38, v4
	v_fma_f32 v39, v53, s1, -v116
	v_mul_f32_e32 v40, 0xbe750f2a, v40
	v_fmac_f32_e32 v117, 0x3f116cb1, v57
	v_add_f32_e32 v38, v39, v38
	v_mov_b32_e32 v39, v40
	v_mul_f32_e32 v41, 0x3eedf032, v41
	v_add_f32_e32 v36, v117, v36
	v_fmac_f32_e32 v39, 0xbf788fa5, v50
	v_mov_b32_e32 v117, v41
	v_add_f32_e32 v39, v39, v5
	v_fmac_f32_e32 v117, 0x3f62ad3f, v54
	v_mul_f32_e32 v69, 0xbf29c268, v69
	v_add_f32_e32 v39, v117, v39
	v_fma_f32 v117, v57, s6, -v69
	v_mul_f32_e32 v108, 0xbf29c268, v108
	v_add_f32_e32 v38, v117, v38
	v_mov_b32_e32 v117, v108
	v_fmac_f32_e32 v117, 0xbf3f9e67, v58
	v_mul_f32_e32 v109, 0x3f52af12, v109
	v_add_f32_e32 v39, v117, v39
	v_fma_f32 v117, v59, s0, -v109
	v_mul_f32_e32 v110, 0x3f52af12, v110
	v_add_f32_e32 v38, v117, v38
	v_mov_b32_e32 v117, v110
	v_fmac_f32_e32 v115, 0xbf788fa5, v49
	v_fmac_f32_e32 v117, 0x3f116cb1, v61
	v_mul_f32_e32 v111, 0xbf6f5d39, v111
	v_add_f32_e32 v115, v115, v4
	v_fmac_f32_e32 v116, 0x3f62ad3f, v53
	v_fma_f32 v40, v50, s7, -v40
	v_add_f32_e32 v39, v117, v39
	v_fma_f32 v117, v64, s3, -v111
	v_mul_f32_e32 v112, 0xbf6f5d39, v112
	v_add_f32_e32 v115, v116, v115
	v_add_f32_e32 v40, v40, v5
	v_fma_f32 v41, v54, s1, -v41
	v_fmac_f32_e32 v69, 0xbf3f9e67, v57
	v_add_f32_e32 v38, v117, v38
	v_mov_b32_e32 v117, v112
	v_add_f32_e32 v40, v41, v40
	v_add_f32_e32 v41, v69, v115
	v_fma_f32 v69, v58, s6, -v108
	v_fmac_f32_e32 v109, 0x3f116cb1, v59
	v_fmac_f32_e32 v117, 0xbeb58ec6, v68
	v_mul_f32_e32 v113, 0x3f7e222b, v113
	v_add_f32_e32 v40, v69, v40
	v_add_f32_e32 v41, v109, v41
	v_fma_f32 v69, v61, s0, -v110
	v_fmac_f32_e32 v111, 0xbeb58ec6, v64
	v_add_f32_e32 v39, v117, v39
	v_fma_f32 v117, v79, s2, -v113
	v_mul_f32_e32 v114, 0x3f7e222b, v114
	v_add_f32_e32 v40, v69, v40
	v_add_f32_e32 v41, v111, v41
	v_fma_f32 v69, v68, s3, -v112
	v_fmac_f32_e32 v113, 0x3df6dbef, v79
	v_add_f32_e32 v69, v69, v40
	v_add_f32_e32 v40, v113, v41
	v_fma_f32 v41, v81, s2, -v114
	s_load_dwordx2 s[6:7], s[4:5], 0x20
	s_load_dwordx2 s[2:3], s[4:5], 0x8
	v_fmac_f32_e32 v119, 0xbf788fa5, v59
	v_mov_b32_e32 v125, v124
	v_add_f32_e32 v36, v119, v36
	v_fmac_f32_e32 v121, 0x3f62ad3f, v64
	v_add_f32_e32 v38, v117, v38
	v_mov_b32_e32 v117, v114
	v_fmac_f32_e32 v125, 0xbeb58ec6, v81
	v_add_f32_e32 v36, v121, v36
	v_fmac_f32_e32 v123, 0xbeb58ec6, v79
	v_fmac_f32_e32 v117, 0x3df6dbef, v81
	v_add_f32_e32 v31, v125, v31
	v_add_f32_e32 v36, v123, v36
	;; [unrolled: 1-line block ×4, first 2 shown]
	v_mul_lo_u16_e32 v69, 13, v66
	s_waitcnt lgkmcnt(0)
	s_barrier
	s_and_saveexec_b64 s[0:1], vcc
	s_cbranch_execz .LBB0_7
; %bb.6:
	v_mul_f32_e32 v109, 0x3f62ad3f, v50
	v_mul_f32_e32 v111, 0x3f116cb1, v50
	;; [unrolled: 1-line block ×8, first 2 shown]
	v_add_f32_e32 v50, v102, v50
	v_mul_f32_e32 v121, 0x3df6dbef, v58
	v_mul_f32_e32 v123, 0xbf788fa5, v58
	;; [unrolled: 1-line block ×4, first 2 shown]
	v_add_f32_e32 v54, v103, v54
	v_add_f32_e32 v50, v50, v5
	;; [unrolled: 1-line block ×4, first 2 shown]
	v_mul_f32_e32 v108, 0x3f62ad3f, v49
	v_mul_f32_e32 v110, 0x3f116cb1, v49
	;; [unrolled: 1-line block ×4, first 2 shown]
	v_add_f32_e32 v50, v54, v50
	v_mul_f32_e32 v54, 0x3df6dbef, v61
	v_mul_f32_e32 v114, 0x3f116cb1, v53
	;; [unrolled: 1-line block ×5, first 2 shown]
	v_add_f32_e32 v54, v105, v54
	v_sub_f32_e32 v49, v49, v96
	v_mul_f32_e32 v120, 0x3df6dbef, v57
	v_mul_f32_e32 v122, 0xbf788fa5, v57
	v_mul_f32_e32 v124, 0xbeb58ec6, v57
	v_mul_f32_e32 v57, 0x3f62ad3f, v57
	v_add_f32_e32 v50, v54, v50
	v_mul_f32_e32 v54, 0xbf788fa5, v68
	v_sub_f32_e32 v53, v53, v97
	v_add_f32_e32 v49, v49, v4
	v_mul_f32_e32 v102, 0xbeb58ec6, v59
	v_mul_f32_e32 v126, 0xbf3f9e67, v59
	;; [unrolled: 1-line block ×4, first 2 shown]
	v_add_f32_e32 v54, v106, v54
	v_add_f32_e32 v49, v53, v49
	v_sub_f32_e32 v57, v57, v98
	v_mul_f32_e32 v105, 0xbf3f9e67, v64
	v_add_f32_e32 v50, v54, v50
	v_mul_f32_e32 v54, 0x3f116cb1, v81
	v_mul_f32_e32 v96, 0x3df6dbef, v64
	;; [unrolled: 1-line block ×4, first 2 shown]
	v_add_f32_e32 v49, v57, v49
	v_sub_f32_e32 v57, v59, v99
	v_add_f32_e32 v54, v107, v54
	v_mul_f32_e32 v98, 0xbf788fa5, v79
	v_mul_f32_e32 v59, 0x3f62ad3f, v79
	v_add_f32_e32 v49, v57, v49
	v_sub_f32_e32 v64, v64, v100
	v_mul_f32_e32 v99, 0xbf3f9e67, v79
	v_mul_f32_e32 v79, 0x3f116cb1, v79
	v_add_f32_e32 v50, v54, v50
	v_add_f32_e32 v49, v64, v49
	v_sub_f32_e32 v54, v79, v101
	v_add_f32_e32 v49, v54, v49
	v_add_f32_e32 v54, v88, v113
	;; [unrolled: 1-line block ×4, first 2 shown]
	v_mul_f32_e32 v103, 0xbeb58ec6, v61
	v_mul_f32_e32 v58, 0xbf3f9e67, v61
	v_mul_f32_e32 v61, 0x3f62ad3f, v61
	v_add_f32_e32 v54, v64, v54
	v_add_f32_e32 v64, v92, v125
	v_mul_f32_e32 v106, 0xbf3f9e67, v68
	v_mul_f32_e32 v97, 0x3df6dbef, v68
	v_mul_f32_e32 v68, 0x3f116cb1, v68
	v_add_f32_e32 v54, v64, v54
	v_add_f32_e32 v61, v93, v61
	;; [unrolled: 5-line block ×3, first 2 shown]
	v_add_f32_e32 v54, v61, v54
	v_add_f32_e32 v61, v95, v81
	v_add_f32_e32 v54, v61, v54
	v_sub_f32_e32 v61, v112, v84
	v_add_f32_e32 v61, v61, v4
	v_sub_f32_e32 v64, v118, v85
	v_add_f32_e32 v61, v64, v61
	;; [unrolled: 2-line block ×6, first 2 shown]
	v_add_f32_e32 v61, v74, v111
	v_add_f32_e32 v61, v61, v5
	;; [unrolled: 1-line block ×12, first 2 shown]
	v_sub_f32_e32 v57, v110, v70
	v_add_f32_e32 v45, v45, v109
	v_sub_f32_e32 v43, v108, v43
	v_add_f32_e32 v57, v57, v4
	v_add_f32_e32 v45, v45, v5
	;; [unrolled: 1-line block ×16, first 2 shown]
	v_sub_f32_e32 v44, v114, v44
	v_add_f32_e32 v5, v11, v5
	v_add_f32_e32 v4, v10, v4
	v_sub_f32_e32 v61, v116, v71
	v_add_f32_e32 v45, v46, v45
	v_add_f32_e32 v46, v48, v121
	v_add_f32_e32 v43, v44, v43
	v_sub_f32_e32 v44, v120, v47
	v_add_f32_e32 v5, v17, v5
	;; [unrolled: 4-line block ×9, first 2 shown]
	v_add_f32_e32 v44, v44, v43
	v_add_f32_e32 v5, v29, v5
	;; [unrolled: 1-line block ×3, first 2 shown]
	v_add_lshl_u32 v6, v42, v69, 3
	v_add_f32_e32 v57, v59, v57
	ds_write2_b64 v6, v[4:5], v[44:45] offset1:1
	ds_write2_b64 v6, v[57:58], v[53:54] offset0:2 offset1:3
	ds_write2_b64 v6, v[49:50], v[30:31] offset0:4 offset1:5
	;; [unrolled: 1-line block ×5, first 2 shown]
	ds_write_b64 v6, v[2:3] offset:96
.LBB0_7:
	s_or_b64 exec, exec, s[0:1]
	v_add_lshl_u32 v68, v42, v66, 3
	v_add_u32_e32 v4, 0x400, v68
	s_waitcnt lgkmcnt(0)
	s_barrier
	ds_read2_b64 v[20:23], v68 offset1:91
	ds_read2_b64 v[24:27], v4 offset0:54 offset1:145
	ds_read_b64 v[28:29], v68 offset:2912
	v_cmp_gt_u16_e64 s[0:1], 26, v66
	s_and_saveexec_b64 s[4:5], s[0:1]
	s_cbranch_execz .LBB0_9
; %bb.8:
	ds_read2_b64 v[4:7], v4 offset0:119 offset1:210
	ds_read2_b64 v[8:11], v68 offset0:65 offset1:156
	ds_read_b64 v[32:33], v68 offset:3432
	s_waitcnt lgkmcnt(2)
	v_mov_b32_e32 v40, v4
	v_mov_b32_e32 v41, v5
	v_mov_b32_e32 v36, v6
	v_mov_b32_e32 v37, v7
	s_waitcnt lgkmcnt(1)
	v_mov_b32_e32 v38, v10
	v_mov_b32_e32 v39, v11
	;; [unrolled: 1-line block ×4, first 2 shown]
.LBB0_9:
	s_or_b64 exec, exec, s[4:5]
	s_movk_i32 s4, 0x4f
	v_mul_lo_u16_sdwa v4, v66, s4 dst_sel:DWORD dst_unused:UNUSED_PAD src0_sel:BYTE_0 src1_sel:DWORD
	v_lshrrev_b16_e32 v57, 10, v4
	v_mul_lo_u16_e32 v4, 13, v57
	v_sub_u16_e32 v58, v66, v4
	v_mov_b32_e32 v4, 5
	v_lshlrev_b32_sdwa v5, v4, v58 dst_sel:DWORD dst_unused:UNUSED_PAD src0_sel:DWORD src1_sel:BYTE_0
	global_load_dwordx4 v[16:19], v5, s[2:3]
	global_load_dwordx4 v[12:15], v5, s[2:3] offset:16
	v_add_u16_e32 v5, 0x41, v66
	v_mul_lo_u16_sdwa v6, v5, s4 dst_sel:DWORD dst_unused:UNUSED_PAD src0_sel:BYTE_0 src1_sel:DWORD
	v_lshrrev_b16_e32 v70, 10, v6
	v_mul_lo_u16_e32 v6, 13, v70
	v_sub_u16_e32 v71, v5, v6
	v_lshlrev_b32_sdwa v43, v4, v71 dst_sel:DWORD dst_unused:UNUSED_PAD src0_sel:DWORD src1_sel:BYTE_0
	global_load_dwordx4 v[8:11], v43, s[2:3]
	global_load_dwordx4 v[4:7], v43, s[2:3] offset:16
	s_load_dwordx4 s[4:7], s[6:7], 0x0
	v_mul_u32_u24_e32 v57, 0x41, v57
	v_add_u32_sdwa v57, v57, v58 dst_sel:DWORD dst_unused:UNUSED_PAD src0_sel:DWORD src1_sel:BYTE_0
	v_add_lshl_u32 v73, v42, v57, 3
	s_waitcnt vmcnt(0) lgkmcnt(0)
	s_barrier
	v_mul_f32_e32 v47, v23, v17
	v_mul_f32_e32 v62, v26, v13
	;; [unrolled: 1-line block ×6, first 2 shown]
	v_fma_f32 v47, v22, v16, -v47
	v_mul_f32_e32 v51, v39, v9
	v_fmac_f32_e32 v62, v27, v12
	v_fma_f32 v27, v28, v14, -v50
	v_mul_f32_e32 v61, v24, v19
	v_mul_f32_e32 v63, v28, v15
	;; [unrolled: 1-line block ×6, first 2 shown]
	v_fmac_f32_e32 v59, v23, v16
	v_fma_f32 v48, v24, v18, -v48
	v_fma_f32 v26, v26, v12, -v49
	;; [unrolled: 1-line block ×3, first 2 shown]
	v_add_f32_e32 v38, v47, v27
	v_mul_f32_e32 v52, v41, v11
	v_mul_f32_e32 v46, v32, v7
	v_fmac_f32_e32 v61, v25, v18
	v_fmac_f32_e32 v63, v29, v14
	;; [unrolled: 1-line block ×3, first 2 shown]
	v_fma_f32 v24, v36, v4, -v53
	v_fmac_f32_e32 v45, v37, v4
	v_add_f32_e32 v28, v20, v47
	v_add_f32_e32 v29, v48, v26
	v_sub_f32_e32 v36, v47, v48
	v_sub_f32_e32 v37, v27, v26
	v_add_f32_e32 v41, v21, v59
	v_fma_f32 v49, -0.5, v38, v20
	v_mul_f32_e32 v54, v33, v7
	v_fmac_f32_e32 v43, v39, v8
	v_fmac_f32_e32 v46, v33, v6
	v_sub_f32_e32 v33, v61, v62
	v_sub_f32_e32 v39, v48, v47
	v_sub_f32_e32 v64, v47, v27
	v_add_f32_e32 v28, v28, v48
	v_fma_f32 v47, -0.5, v29, v20
	v_add_f32_e32 v29, v36, v37
	v_add_f32_e32 v36, v41, v61
	v_mov_b32_e32 v53, v49
	v_fma_f32 v23, v40, v10, -v52
	v_fma_f32 v25, v32, v6, -v54
	v_sub_f32_e32 v32, v59, v63
	v_sub_f32_e32 v40, v26, v27
	;; [unrolled: 1-line block ×3, first 2 shown]
	v_add_f32_e32 v26, v28, v26
	v_fmac_f32_e32 v49, 0x3f737871, v33
	v_add_f32_e32 v28, v36, v62
	v_fmac_f32_e32 v53, 0xbf737871, v33
	v_add_f32_e32 v50, v61, v62
	v_sub_f32_e32 v51, v59, v61
	v_sub_f32_e32 v52, v63, v62
	v_add_f32_e32 v20, v39, v40
	v_add_f32_e32 v55, v26, v27
	v_fmac_f32_e32 v49, 0xbf167918, v32
	v_add_f32_e32 v56, v28, v63
	v_fmac_f32_e32 v53, 0x3f167918, v32
	v_sub_f32_e32 v27, v22, v23
	v_sub_f32_e32 v28, v25, v24
	v_fma_f32 v48, -0.5, v50, v21
	v_add_f32_e32 v37, v51, v52
	v_mov_b32_e32 v51, v47
	v_fmac_f32_e32 v49, 0x3e9e377a, v20
	v_fmac_f32_e32 v53, 0x3e9e377a, v20
	v_add_f32_e32 v20, v59, v63
	v_add_f32_e32 v27, v27, v28
	;; [unrolled: 1-line block ×3, first 2 shown]
	v_fmac_f32_e32 v47, 0xbf737871, v32
	v_mov_b32_e32 v52, v48
	v_fmac_f32_e32 v51, 0x3f737871, v32
	v_fma_f32 v50, -0.5, v20, v21
	v_fma_f32 v38, -0.5, v28, v30
	v_fmac_f32_e32 v47, 0xbf167918, v33
	v_fmac_f32_e32 v52, 0xbf737871, v64
	;; [unrolled: 1-line block ×4, first 2 shown]
	v_mov_b32_e32 v54, v50
	v_sub_f32_e32 v20, v61, v59
	v_sub_f32_e32 v21, v62, v63
	;; [unrolled: 1-line block ×3, first 2 shown]
	v_mov_b32_e32 v36, v38
	v_fmac_f32_e32 v47, 0x3e9e377a, v29
	v_fmac_f32_e32 v52, 0xbf167918, v72
	;; [unrolled: 1-line block ×5, first 2 shown]
	v_add_f32_e32 v20, v20, v21
	v_fmac_f32_e32 v50, 0xbf737871, v72
	v_sub_f32_e32 v21, v43, v46
	v_fmac_f32_e32 v36, 0xbf737871, v26
	v_sub_f32_e32 v28, v23, v22
	v_sub_f32_e32 v29, v24, v25
	v_fmac_f32_e32 v38, 0x3f737871, v26
	v_fmac_f32_e32 v52, 0x3e9e377a, v37
	;; [unrolled: 1-line block ×6, first 2 shown]
	v_add_f32_e32 v28, v28, v29
	v_fmac_f32_e32 v38, 0xbf167918, v21
	v_sub_f32_e32 v33, v43, v44
	v_sub_f32_e32 v37, v46, v45
	v_fmac_f32_e32 v54, 0x3e9e377a, v20
	v_fmac_f32_e32 v50, 0x3e9e377a, v20
	v_add_f32_e32 v20, v23, v24
	v_fmac_f32_e32 v36, 0x3e9e377a, v28
	v_fmac_f32_e32 v38, 0x3e9e377a, v28
	v_add_f32_e32 v28, v44, v45
	v_add_f32_e32 v41, v33, v37
	;; [unrolled: 1-line block ×3, first 2 shown]
	v_fma_f32 v20, -0.5, v20, v30
	v_fma_f32 v28, -0.5, v28, v31
	;; [unrolled: 1-line block ×3, first 2 shown]
	v_mov_b32_e32 v32, v20
	v_sub_f32_e32 v29, v22, v25
	v_sub_f32_e32 v40, v23, v24
	v_mov_b32_e32 v33, v28
	v_mov_b32_e32 v37, v39
	v_fmac_f32_e32 v32, 0xbf737871, v21
	v_fmac_f32_e32 v33, 0x3f737871, v29
	;; [unrolled: 1-line block ×3, first 2 shown]
	v_sub_f32_e32 v59, v44, v43
	v_sub_f32_e32 v61, v45, v46
	v_fmac_f32_e32 v39, 0xbf737871, v40
	v_fmac_f32_e32 v32, 0xbf167918, v26
	;; [unrolled: 1-line block ×4, first 2 shown]
	v_add_f32_e32 v59, v59, v61
	v_fmac_f32_e32 v39, 0x3f167918, v29
	v_fmac_f32_e32 v32, 0x3e9e377a, v27
	;; [unrolled: 1-line block ×5, first 2 shown]
	ds_write2_b64 v73, v[55:56], v[51:52] offset1:13
	ds_write2_b64 v73, v[53:54], v[49:50] offset0:26 offset1:39
	ds_write_b64 v73, v[47:48] offset:416
	s_and_saveexec_b64 s[8:9], s[0:1]
	s_cbranch_execz .LBB0_11
; %bb.10:
	v_mul_f32_e32 v47, 0x3f737871, v21
	v_add_f32_e32 v22, v30, v22
	v_mul_f32_e32 v26, 0x3f167918, v26
	v_add_f32_e32 v20, v20, v47
	v_add_f32_e32 v22, v22, v23
	v_mul_f32_e32 v21, 0x3f737871, v29
	v_add_f32_e32 v20, v26, v20
	v_add_f32_e32 v26, v31, v43
	;; [unrolled: 1-line block ×3, first 2 shown]
	v_mul_f32_e32 v29, 0x3f167918, v40
	v_sub_f32_e32 v21, v28, v21
	v_add_f32_e32 v26, v26, v44
	v_add_f32_e32 v25, v22, v25
	v_mul_u32_u24_e32 v22, 0x41, v70
	v_mul_f32_e32 v27, 0x3e9e377a, v27
	v_mul_f32_e32 v40, 0x3e9e377a, v41
	v_sub_f32_e32 v21, v21, v29
	v_add_f32_e32 v26, v26, v45
	v_add_u32_sdwa v22, v22, v71 dst_sel:DWORD dst_unused:UNUSED_PAD src0_sel:DWORD src1_sel:BYTE_0
	v_add_f32_e32 v21, v40, v21
	v_add_f32_e32 v20, v27, v20
	;; [unrolled: 1-line block ×3, first 2 shown]
	v_add_lshl_u32 v22, v42, v22, 3
	ds_write2_b64 v22, v[25:26], v[20:21] offset1:13
	ds_write2_b64 v22, v[36:37], v[38:39] offset0:26 offset1:39
	ds_write_b64 v22, v[32:33] offset:416
.LBB0_11:
	s_or_b64 exec, exec, s[8:9]
	v_mad_u64_u32 v[40:41], s[2:3], v66, 48, s[2:3]
	s_waitcnt lgkmcnt(0)
	s_barrier
	global_load_dwordx4 v[28:31], v[40:41], off offset:416
	global_load_dwordx4 v[24:27], v[40:41], off offset:432
	;; [unrolled: 1-line block ×3, first 2 shown]
	v_add_u32_e32 v44, 0x400, v68
	v_add_u32_e32 v48, 0x800, v68
	ds_read_b64 v[52:53], v68
	ds_read2_b64 v[40:43], v68 offset0:65 offset1:130
	ds_read2_b64 v[44:47], v44 offset0:67 offset1:132
	;; [unrolled: 1-line block ×3, first 2 shown]
	s_mov_b32 s3, 0x3f3bfb3b
	s_mov_b32 s2, 0x3f5ff5aa
	;; [unrolled: 1-line block ×3, first 2 shown]
	s_waitcnt vmcnt(2) lgkmcnt(2)
	v_mul_f32_e32 v54, v41, v29
	v_mul_f32_e32 v55, v40, v29
	;; [unrolled: 1-line block ×3, first 2 shown]
	s_waitcnt vmcnt(1) lgkmcnt(1)
	v_mul_f32_e32 v58, v45, v25
	v_mul_f32_e32 v59, v44, v25
	s_waitcnt vmcnt(0) lgkmcnt(0)
	v_mul_f32_e32 v63, v49, v21
	v_mul_f32_e32 v72, v51, v23
	;; [unrolled: 1-line block ×7, first 2 shown]
	v_fma_f32 v40, v40, v28, -v54
	v_fmac_f32_e32 v55, v41, v28
	v_fma_f32 v41, v42, v30, -v56
	v_fma_f32 v42, v44, v24, -v58
	v_fmac_f32_e32 v59, v45, v24
	v_fma_f32 v44, v48, v20, -v63
	;; [unrolled: 3-line block ×3, first 2 shown]
	v_fmac_f32_e32 v62, v47, v26
	v_fmac_f32_e32 v64, v49, v20
	;; [unrolled: 1-line block ×3, first 2 shown]
	v_add_f32_e32 v46, v40, v45
	v_add_f32_e32 v48, v41, v44
	;; [unrolled: 1-line block ×4, first 2 shown]
	v_sub_f32_e32 v41, v41, v44
	v_add_f32_e32 v50, v42, v43
	v_add_f32_e32 v51, v59, v62
	v_sub_f32_e32 v42, v43, v42
	v_add_f32_e32 v54, v48, v46
	v_sub_f32_e32 v40, v40, v45
	v_sub_f32_e32 v45, v55, v74
	;; [unrolled: 1-line block ×4, first 2 shown]
	v_add_f32_e32 v55, v49, v47
	v_sub_f32_e32 v56, v48, v46
	v_sub_f32_e32 v57, v49, v47
	;; [unrolled: 1-line block ×5, first 2 shown]
	v_add_f32_e32 v58, v42, v41
	v_sub_f32_e32 v61, v42, v41
	v_add_f32_e32 v50, v50, v54
	v_sub_f32_e32 v47, v47, v51
	;; [unrolled: 2-line block ×3, first 2 shown]
	v_sub_f32_e32 v42, v40, v42
	v_sub_f32_e32 v41, v41, v40
	v_add_f32_e32 v51, v51, v55
	v_add_f32_e32 v40, v58, v40
	v_mul_f32_e32 v55, 0x3d64c772, v49
	v_mul_f32_e32 v58, 0xbf08b237, v61
	v_add_f32_e32 v61, v52, v50
	v_sub_f32_e32 v43, v45, v43
	v_sub_f32_e32 v44, v44, v45
	v_add_f32_e32 v45, v59, v45
	v_mul_f32_e32 v46, 0x3f4a47b2, v46
	v_mul_f32_e32 v47, 0x3f4a47b2, v47
	v_mul_f32_e32 v54, 0x3d64c772, v48
	v_mul_f32_e32 v59, 0xbf08b237, v62
	v_add_f32_e32 v62, v53, v51
	v_fma_f32 v53, v57, s3, -v55
	v_mov_b32_e32 v55, v61
	v_mul_f32_e32 v63, 0x3f5ff5aa, v41
	v_mul_f32_e32 v64, 0x3f5ff5aa, v44
	v_fma_f32 v52, v56, s3, -v54
	v_fma_f32 v54, v56, s8, -v46
	v_fmac_f32_e32 v46, 0x3d64c772, v48
	v_fma_f32 v48, v57, s8, -v47
	v_mov_b32_e32 v56, v62
	v_fmac_f32_e32 v55, 0xbf955555, v50
	v_fmac_f32_e32 v47, 0x3d64c772, v49
	v_fma_f32 v49, v41, s2, -v58
	v_fma_f32 v50, v44, s2, -v59
	s_mov_b32 s2, 0xbeae86e6
	v_fmac_f32_e32 v56, 0xbf955555, v51
	v_fmac_f32_e32 v58, 0x3eae86e6, v42
	v_fmac_f32_e32 v59, 0x3eae86e6, v43
	v_fma_f32 v51, v42, s2, -v63
	v_fma_f32 v57, v43, s2, -v64
	v_add_f32_e32 v63, v46, v55
	v_add_f32_e32 v64, v47, v56
	;; [unrolled: 1-line block ×6, first 2 shown]
	v_fmac_f32_e32 v58, 0x3ee1c552, v40
	v_fmac_f32_e32 v59, 0x3ee1c552, v45
	;; [unrolled: 1-line block ×6, first 2 shown]
	v_lshl_add_u32 v72, v66, 3, v67
	v_add_f32_e32 v40, v59, v63
	v_sub_f32_e32 v41, v64, v58
	v_add_f32_e32 v42, v57, v52
	v_sub_f32_e32 v43, v53, v51
	v_sub_f32_e32 v44, v46, v50
	v_add_f32_e32 v45, v49, v47
	v_add_f32_e32 v46, v50, v46
	v_sub_f32_e32 v47, v47, v49
	v_sub_f32_e32 v48, v52, v57
	v_add_f32_e32 v49, v51, v53
	v_sub_f32_e32 v50, v63, v59
	v_add_f32_e32 v51, v58, v64
	v_add_u32_e32 v52, 0x400, v72
	v_add_u32_e32 v53, 0x800, v72
	ds_write_b64 v72, v[61:62]
	ds_write2_b64 v72, v[40:41], v[42:43] offset0:65 offset1:130
	ds_write2_b64 v52, v[44:45], v[46:47] offset0:67 offset1:132
	;; [unrolled: 1-line block ×3, first 2 shown]
	s_waitcnt lgkmcnt(0)
	s_barrier
	s_and_saveexec_b64 s[2:3], vcc
	s_cbranch_execz .LBB0_13
; %bb.12:
	global_load_dwordx2 v[54:55], v65, s[12:13] offset:3640
	s_add_u32 s8, s12, 0xe38
	s_addc_u32 s9, s13, 0
	global_load_dwordx2 v[58:59], v65, s[8:9] offset:280
	global_load_dwordx2 v[63:64], v65, s[8:9] offset:560
	;; [unrolled: 1-line block ×12, first 2 shown]
	ds_read_b64 v[56:57], v72
	s_waitcnt vmcnt(12) lgkmcnt(0)
	v_mul_f32_e32 v74, v57, v55
	v_mul_f32_e32 v75, v56, v55
	v_fma_f32 v74, v56, v54, -v74
	v_fmac_f32_e32 v75, v57, v54
	ds_write_b64 v72, v[74:75]
	ds_read2_b64 v[54:57], v72 offset0:35 offset1:70
	ds_read2_b64 v[74:77], v72 offset0:105 offset1:140
	;; [unrolled: 1-line block ×6, first 2 shown]
	s_waitcnt vmcnt(11) lgkmcnt(5)
	v_mul_f32_e32 v115, v55, v59
	v_mul_f32_e32 v114, v54, v59
	s_waitcnt vmcnt(10)
	v_mul_f32_e32 v116, v57, v64
	v_mul_f32_e32 v59, v56, v64
	s_waitcnt vmcnt(9) lgkmcnt(4)
	v_mul_f32_e32 v117, v75, v95
	v_mul_f32_e32 v64, v74, v95
	s_waitcnt vmcnt(8)
	v_mul_f32_e32 v118, v77, v97
	v_mul_f32_e32 v95, v76, v97
	s_waitcnt vmcnt(7) lgkmcnt(3)
	v_mul_f32_e32 v119, v79, v99
	v_mul_f32_e32 v97, v78, v99
	s_waitcnt vmcnt(6)
	v_mul_f32_e32 v120, v81, v101
	v_mul_f32_e32 v99, v80, v101
	s_waitcnt vmcnt(5) lgkmcnt(2)
	v_mul_f32_e32 v121, v83, v103
	v_mul_f32_e32 v101, v82, v103
	s_waitcnt vmcnt(4)
	v_mul_f32_e32 v122, v85, v105
	v_mul_f32_e32 v103, v84, v105
	s_waitcnt vmcnt(3) lgkmcnt(1)
	v_mul_f32_e32 v123, v87, v107
	v_mul_f32_e32 v105, v86, v107
	s_waitcnt vmcnt(2)
	v_mul_f32_e32 v124, v89, v109
	v_mul_f32_e32 v107, v88, v109
	s_waitcnt vmcnt(1) lgkmcnt(0)
	v_mul_f32_e32 v125, v91, v111
	v_mul_f32_e32 v109, v90, v111
	s_waitcnt vmcnt(0)
	v_mul_f32_e32 v126, v93, v113
	v_mul_f32_e32 v111, v92, v113
	v_fma_f32 v113, v54, v58, -v115
	v_fmac_f32_e32 v114, v55, v58
	v_fma_f32 v58, v56, v63, -v116
	v_fmac_f32_e32 v59, v57, v63
	;; [unrolled: 2-line block ×12, first 2 shown]
	ds_write2_b64 v72, v[113:114], v[58:59] offset0:35 offset1:70
	ds_write2_b64 v72, v[63:64], v[94:95] offset0:105 offset1:140
	;; [unrolled: 1-line block ×6, first 2 shown]
.LBB0_13:
	s_or_b64 exec, exec, s[2:3]
	s_waitcnt lgkmcnt(0)
	s_barrier
	s_and_saveexec_b64 s[2:3], vcc
	s_cbranch_execz .LBB0_15
; %bb.14:
	v_add_u32_e32 v0, 0x800, v72
	ds_read_b64 v[61:62], v72
	ds_read2_b64 v[40:43], v72 offset0:35 offset1:70
	ds_read2_b64 v[44:47], v72 offset0:105 offset1:140
	;; [unrolled: 1-line block ×5, first 2 shown]
	v_add_u32_e32 v36, 0x400, v72
	ds_read2_b64 v[36:39], v36 offset0:117 offset1:152
.LBB0_15:
	s_or_b64 exec, exec, s[2:3]
	s_waitcnt lgkmcnt(1)
	v_sub_f32_e32 v82, v41, v3
	v_add_f32_e32 v74, v2, v40
	v_add_f32_e32 v84, v3, v41
	s_mov_b32 s8, 0xbeb58ec6
	v_mul_f32_e32 v94, 0xbf6f5d39, v82
	v_sub_f32_e32 v86, v43, v1
	v_mul_f32_e32 v96, 0xbeb58ec6, v84
	v_fma_f32 v52, v74, s8, -v94
	s_mov_b32 s9, 0xbf3f9e67
	v_add_f32_e32 v76, v0, v42
	v_add_f32_e32 v88, v1, v43
	v_mul_f32_e32 v98, 0x3f29c268, v86
	v_sub_f32_e32 v75, v40, v2
	v_add_f32_e32 v52, v61, v52
	v_mov_b32_e32 v53, v96
	v_mul_f32_e32 v100, 0xbf3f9e67, v88
	v_fma_f32 v78, v76, s9, -v98
	v_fmac_f32_e32 v53, 0xbf6f5d39, v75
	v_sub_f32_e32 v77, v42, v0
	v_add_f32_e32 v52, v78, v52
	v_mov_b32_e32 v78, v100
	v_add_f32_e32 v53, v62, v53
	v_mul_f32_e32 v54, 0xbf29c268, v82
	v_fmac_f32_e32 v78, 0x3f29c268, v77
	v_mov_b32_e32 v55, v54
	v_add_f32_e32 v53, v78, v53
	v_mul_f32_e32 v78, 0x3f7e222b, v86
	v_fmac_f32_e32 v55, 0xbf3f9e67, v74
	v_mov_b32_e32 v79, v78
	v_add_f32_e32 v55, v61, v55
	v_mul_f32_e32 v56, 0xbf3f9e67, v84
	v_fma_f32 v54, v74, s9, -v54
	s_mov_b32 s11, 0x3df6dbef
	v_fmac_f32_e32 v79, 0x3df6dbef, v76
	v_mov_b32_e32 v57, v56
	v_add_f32_e32 v54, v61, v54
	v_fmac_f32_e32 v56, 0xbf29c268, v75
	v_mul_f32_e32 v58, 0xbe750f2a, v82
	v_add_f32_e32 v55, v79, v55
	v_mul_f32_e32 v79, 0x3df6dbef, v88
	v_fma_f32 v78, v76, s11, -v78
	v_add_f32_e32 v56, v62, v56
	v_mov_b32_e32 v59, v58
	v_mov_b32_e32 v80, v79
	v_add_f32_e32 v54, v78, v54
	v_fmac_f32_e32 v79, 0x3f7e222b, v77
	v_mul_f32_e32 v78, 0x3eedf032, v86
	v_fmac_f32_e32 v59, 0xbf788fa5, v74
	v_add_f32_e32 v56, v79, v56
	v_mov_b32_e32 v79, v78
	v_fmac_f32_e32 v57, 0x3f29c268, v75
	s_mov_b32 s10, 0xbf788fa5
	v_add_f32_e32 v59, v61, v59
	v_mul_f32_e32 v63, 0xbf788fa5, v84
	v_fmac_f32_e32 v79, 0x3f62ad3f, v76
	v_add_f32_e32 v57, v62, v57
	v_mov_b32_e32 v64, v63
	v_fma_f32 v58, v74, s10, -v58
	v_fmac_f32_e32 v80, 0xbf7e222b, v77
	s_mov_b32 s16, 0x3f62ad3f
	v_add_f32_e32 v59, v79, v59
	v_mul_f32_e32 v79, 0x3f62ad3f, v88
	v_fmac_f32_e32 v64, 0x3e750f2a, v75
	v_add_f32_e32 v58, v61, v58
	v_add_f32_e32 v57, v80, v57
	v_mov_b32_e32 v80, v79
	v_fma_f32 v78, v76, s16, -v78
	v_sub_f32_e32 v90, v45, v35
	v_add_f32_e32 v64, v62, v64
	v_fmac_f32_e32 v63, 0xbe750f2a, v75
	v_fmac_f32_e32 v80, 0xbeedf032, v77
	v_add_f32_e32 v58, v78, v58
	v_add_f32_e32 v78, v34, v44
	;; [unrolled: 1-line block ×3, first 2 shown]
	v_mul_f32_e32 v102, 0x3eedf032, v90
	v_add_f32_e32 v63, v62, v63
	v_add_f32_e32 v64, v80, v64
	v_fmac_f32_e32 v79, 0x3eedf032, v77
	v_mul_f32_e32 v103, 0x3f62ad3f, v91
	v_fma_f32 v80, v78, s16, -v102
	v_add_f32_e32 v63, v79, v63
	v_sub_f32_e32 v79, v44, v34
	v_add_f32_e32 v52, v80, v52
	v_mov_b32_e32 v80, v103
	v_fmac_f32_e32 v80, 0x3eedf032, v79
	v_add_f32_e32 v53, v80, v53
	v_mul_f32_e32 v80, 0xbf52af12, v90
	v_mov_b32_e32 v81, v80
	s_mov_b32 s17, 0x3f116cb1
	v_fmac_f32_e32 v81, 0x3f116cb1, v78
	v_add_f32_e32 v55, v81, v55
	v_mul_f32_e32 v81, 0x3f116cb1, v91
	v_fma_f32 v80, v78, s17, -v80
	v_mov_b32_e32 v83, v81
	v_add_f32_e32 v54, v80, v54
	v_fmac_f32_e32 v81, 0xbf52af12, v79
	v_mul_f32_e32 v80, 0xbf29c268, v90
	v_add_f32_e32 v56, v81, v56
	v_mov_b32_e32 v81, v80
	v_fmac_f32_e32 v81, 0xbf3f9e67, v78
	v_fmac_f32_e32 v83, 0x3f52af12, v79
	v_add_f32_e32 v59, v81, v59
	v_mul_f32_e32 v81, 0xbf3f9e67, v91
	v_add_f32_e32 v57, v83, v57
	v_mov_b32_e32 v83, v81
	v_fma_f32 v80, v78, s9, -v80
	v_sub_f32_e32 v92, v47, v33
	v_fmac_f32_e32 v83, 0x3f29c268, v79
	v_add_f32_e32 v58, v80, v58
	v_add_f32_e32 v80, v32, v46
	;; [unrolled: 1-line block ×3, first 2 shown]
	v_mul_f32_e32 v104, 0xbf7e222b, v92
	v_add_f32_e32 v64, v83, v64
	v_fmac_f32_e32 v81, 0xbf29c268, v79
	v_mul_f32_e32 v105, 0x3df6dbef, v93
	v_fma_f32 v83, v80, s11, -v104
	v_add_f32_e32 v63, v81, v63
	v_sub_f32_e32 v81, v46, v32
	v_add_f32_e32 v52, v83, v52
	v_mov_b32_e32 v83, v105
	v_fmac_f32_e32 v83, 0xbf7e222b, v81
	v_add_f32_e32 v53, v83, v53
	v_mul_f32_e32 v83, 0x3e750f2a, v92
	v_mov_b32_e32 v85, v83
	v_fmac_f32_e32 v85, 0xbf788fa5, v80
	v_add_f32_e32 v55, v85, v55
	v_mul_f32_e32 v85, 0xbf788fa5, v93
	v_fma_f32 v83, v80, s10, -v83
	v_mov_b32_e32 v87, v85
	v_add_f32_e32 v54, v83, v54
	v_fmac_f32_e32 v85, 0x3e750f2a, v81
	v_mul_f32_e32 v83, 0x3f52af12, v92
	v_add_f32_e32 v56, v85, v56
	v_mov_b32_e32 v85, v83
	v_fmac_f32_e32 v85, 0x3f116cb1, v80
	v_fmac_f32_e32 v87, 0xbe750f2a, v81
	v_add_f32_e32 v59, v85, v59
	v_mul_f32_e32 v85, 0x3f116cb1, v93
	v_add_f32_e32 v57, v87, v57
	v_mov_b32_e32 v87, v85
	v_fma_f32 v83, v80, s17, -v83
	s_waitcnt lgkmcnt(0)
	v_sub_f32_e32 v95, v49, v39
	v_fmac_f32_e32 v87, 0xbf52af12, v81
	v_add_f32_e32 v58, v83, v58
	v_add_f32_e32 v83, v38, v48
	;; [unrolled: 1-line block ×3, first 2 shown]
	v_mul_f32_e32 v106, 0x3e750f2a, v95
	v_add_f32_e32 v64, v87, v64
	v_fmac_f32_e32 v85, 0x3f52af12, v81
	v_mul_f32_e32 v107, 0xbf788fa5, v97
	v_fma_f32 v87, v83, s10, -v106
	v_add_f32_e32 v63, v85, v63
	v_sub_f32_e32 v85, v48, v38
	v_add_f32_e32 v52, v87, v52
	v_mov_b32_e32 v87, v107
	v_fmac_f32_e32 v87, 0x3e750f2a, v85
	v_add_f32_e32 v53, v87, v53
	v_mul_f32_e32 v87, 0x3eedf032, v95
	v_mov_b32_e32 v89, v87
	v_fmac_f32_e32 v89, 0x3f62ad3f, v83
	v_add_f32_e32 v110, v89, v55
	v_mul_f32_e32 v55, 0x3f62ad3f, v97
	v_fma_f32 v87, v83, s16, -v87
	v_mov_b32_e32 v89, v55
	v_add_f32_e32 v111, v87, v54
	v_fmac_f32_e32 v55, 0x3eedf032, v85
	v_mul_f32_e32 v54, 0xbf6f5d39, v95
	v_add_f32_e32 v56, v55, v56
	v_mov_b32_e32 v55, v54
	v_fmac_f32_e32 v55, 0xbeb58ec6, v83
	v_add_f32_e32 v59, v55, v59
	v_mul_f32_e32 v55, 0xbeb58ec6, v97
	v_mov_b32_e32 v87, v55
	v_fmac_f32_e32 v87, 0x3f6f5d39, v85
	v_sub_f32_e32 v99, v51, v37
	v_add_f32_e32 v112, v87, v64
	v_fma_f32 v54, v83, s8, -v54
	v_add_f32_e32 v87, v36, v50
	v_add_f32_e32 v101, v37, v51
	v_mul_f32_e32 v108, 0x3f52af12, v99
	v_fmac_f32_e32 v89, 0xbeedf032, v85
	v_add_f32_e32 v58, v54, v58
	v_mul_f32_e32 v109, 0x3f116cb1, v101
	v_fma_f32 v54, v87, s17, -v108
	v_add_f32_e32 v57, v89, v57
	v_sub_f32_e32 v89, v50, v36
	v_add_f32_e32 v54, v54, v52
	v_mov_b32_e32 v52, v109
	v_fmac_f32_e32 v55, 0xbf6f5d39, v85
	v_fmac_f32_e32 v52, 0x3f52af12, v89
	v_add_f32_e32 v113, v55, v63
	v_add_f32_e32 v55, v52, v53
	v_mul_f32_e32 v52, 0xbf6f5d39, v99
	v_mov_b32_e32 v53, v52
	v_fmac_f32_e32 v53, 0xbeb58ec6, v87
	v_add_f32_e32 v63, v53, v110
	v_mul_f32_e32 v53, 0xbeb58ec6, v101
	v_mov_b32_e32 v64, v53
	v_fmac_f32_e32 v53, 0xbf6f5d39, v89
	v_mul_f32_e32 v110, 0x3f7e222b, v99
	v_add_f32_e32 v53, v53, v56
	v_mov_b32_e32 v56, v110
	v_fmac_f32_e32 v56, 0x3df6dbef, v87
	v_fmac_f32_e32 v64, 0x3f6f5d39, v89
	v_add_f32_e32 v56, v56, v59
	v_mul_f32_e32 v59, 0x3df6dbef, v101
	v_add_f32_e32 v64, v64, v57
	v_mov_b32_e32 v57, v59
	v_fma_f32 v52, v87, s8, -v52
	v_fmac_f32_e32 v57, 0xbf7e222b, v89
	v_fma_f32 v110, v87, s11, -v110
	v_fmac_f32_e32 v59, 0x3f7e222b, v89
	v_add_f32_e32 v52, v52, v111
	v_add_f32_e32 v57, v57, v112
	;; [unrolled: 1-line block ×4, first 2 shown]
	s_barrier
	s_and_saveexec_b64 s[2:3], vcc
	s_cbranch_execz .LBB0_17
; %bb.16:
	v_mul_f32_e32 v111, 0xbf6f5d39, v75
	v_mul_f32_e32 v113, 0x3f29c268, v77
	v_sub_f32_e32 v96, v96, v111
	v_mul_f32_e32 v115, 0x3eedf032, v79
	v_add_f32_e32 v96, v62, v96
	v_sub_f32_e32 v100, v100, v113
	v_mul_f32_e32 v117, 0xbf7e222b, v81
	v_add_f32_e32 v96, v100, v96
	;; [unrolled: 3-line block ×3, first 2 shown]
	v_sub_f32_e32 v100, v105, v117
	v_mul_f32_e32 v110, 0xbeb58ec6, v74
	v_mul_f32_e32 v121, 0x3f52af12, v89
	v_add_f32_e32 v96, v100, v96
	v_sub_f32_e32 v100, v107, v119
	v_mul_f32_e32 v112, 0xbf3f9e67, v76
	v_add_f32_e32 v96, v100, v96
	v_sub_f32_e32 v100, v109, v121
	v_add_f32_e32 v94, v110, v94
	v_mul_f32_e32 v114, 0x3f62ad3f, v78
	v_add_f32_e32 v103, v100, v96
	v_add_f32_e32 v94, v61, v94
	;; [unrolled: 1-line block ×3, first 2 shown]
	v_mul_f32_e32 v116, 0x3df6dbef, v80
	v_add_f32_e32 v94, v96, v94
	v_add_f32_e32 v96, v114, v102
	v_mul_f32_e32 v118, 0xbf788fa5, v83
	v_add_f32_e32 v94, v96, v94
	v_add_f32_e32 v96, v116, v104
	;; [unrolled: 3-line block ×3, first 2 shown]
	v_add_f32_e32 v94, v96, v94
	v_add_f32_e32 v96, v120, v108
	;; [unrolled: 1-line block ×3, first 2 shown]
	v_mul_f32_e32 v94, 0x3df6dbef, v84
	v_mov_b32_e32 v96, v94
	v_mul_f32_e32 v98, 0xbf788fa5, v88
	v_fmac_f32_e32 v96, 0x3f7e222b, v75
	v_mov_b32_e32 v100, v98
	v_add_f32_e32 v96, v62, v96
	v_fmac_f32_e32 v100, 0x3e750f2a, v77
	v_add_f32_e32 v96, v100, v96
	v_mul_f32_e32 v100, 0xbeb58ec6, v91
	v_mov_b32_e32 v104, v100
	v_fmac_f32_e32 v104, 0xbf6f5d39, v79
	v_mul_f32_e32 v108, 0x3f62ad3f, v93
	v_add_f32_e32 v96, v104, v96
	v_mov_b32_e32 v104, v108
	v_fmac_f32_e32 v104, 0xbeedf032, v81
	v_mul_f32_e32 v109, 0x3f116cb1, v97
	v_add_f32_e32 v96, v104, v96
	;; [unrolled: 4-line block ×3, first 2 shown]
	v_mov_b32_e32 v104, v110
	v_fmac_f32_e32 v104, 0x3f29c268, v89
	v_add_f32_e32 v105, v104, v96
	v_mul_f32_e32 v96, 0xbf7e222b, v82
	v_mov_b32_e32 v104, v96
	v_mul_f32_e32 v111, 0xbe750f2a, v86
	v_fmac_f32_e32 v104, 0x3df6dbef, v74
	v_mov_b32_e32 v106, v111
	v_add_f32_e32 v104, v61, v104
	v_fmac_f32_e32 v106, 0xbf788fa5, v76
	v_mul_f32_e32 v112, 0x3f6f5d39, v90
	v_add_f32_e32 v104, v106, v104
	v_mov_b32_e32 v106, v112
	v_fmac_f32_e32 v106, 0xbeb58ec6, v78
	v_mul_f32_e32 v113, 0x3eedf032, v92
	v_add_f32_e32 v104, v106, v104
	v_mov_b32_e32 v106, v113
	v_fmac_f32_e32 v106, 0x3f62ad3f, v80
	v_mul_f32_e32 v114, 0xbf52af12, v95
	v_add_f32_e32 v41, v41, v62
	v_add_f32_e32 v104, v106, v104
	v_mov_b32_e32 v106, v114
	v_add_f32_e32 v41, v43, v41
	v_fmac_f32_e32 v106, 0x3f116cb1, v83
	v_mul_f32_e32 v115, 0xbf29c268, v99
	v_add_f32_e32 v41, v45, v41
	v_add_f32_e32 v104, v106, v104
	v_mov_b32_e32 v106, v115
	v_add_f32_e32 v41, v47, v41
	v_fmac_f32_e32 v106, 0xbf3f9e67, v87
	v_mul_f32_e32 v116, 0x3f116cb1, v84
	v_add_f32_e32 v41, v49, v41
	v_add_f32_e32 v104, v106, v104
	v_mov_b32_e32 v106, v116
	v_mul_f32_e32 v117, 0xbeb58ec6, v88
	v_add_f32_e32 v41, v51, v41
	v_fmac_f32_e32 v106, 0x3f52af12, v75
	v_mov_b32_e32 v107, v117
	v_add_f32_e32 v37, v37, v41
	v_add_f32_e32 v106, v62, v106
	v_fmac_f32_e32 v107, 0x3f6f5d39, v77
	v_mul_f32_e32 v118, 0xbf788fa5, v91
	v_add_f32_e32 v37, v39, v37
	v_add_f32_e32 v106, v107, v106
	v_mov_b32_e32 v107, v118
	v_add_f32_e32 v33, v33, v37
	v_fmac_f32_e32 v107, 0x3e750f2a, v79
	v_mul_f32_e32 v119, 0xbf3f9e67, v93
	v_add_f32_e32 v33, v35, v33
	v_add_f32_e32 v106, v107, v106
	v_mov_b32_e32 v107, v119
	v_add_f32_e32 v1, v1, v33
	v_fmac_f32_e32 v107, 0xbf29c268, v81
	v_mul_f32_e32 v120, 0x3df6dbef, v97
	v_add_f32_e32 v1, v3, v1
	v_add_f32_e32 v3, v40, v61
	;; [unrolled: 1-line block ×3, first 2 shown]
	v_mov_b32_e32 v107, v120
	v_add_f32_e32 v3, v42, v3
	v_fmac_f32_e32 v107, 0xbf7e222b, v85
	v_mul_f32_e32 v121, 0x3f62ad3f, v101
	v_add_f32_e32 v3, v44, v3
	v_add_f32_e32 v106, v107, v106
	v_mov_b32_e32 v107, v121
	v_add_f32_e32 v3, v46, v3
	v_fmac_f32_e32 v107, 0xbeedf032, v89
	v_mul_f32_e32 v122, 0xbf52af12, v82
	v_add_f32_e32 v3, v48, v3
	v_add_f32_e32 v107, v107, v106
	v_mov_b32_e32 v106, v122
	v_mul_f32_e32 v123, 0xbf6f5d39, v86
	v_add_f32_e32 v3, v50, v3
	v_fmac_f32_e32 v106, 0x3f116cb1, v74
	v_mov_b32_e32 v124, v123
	v_add_f32_e32 v3, v36, v3
	v_add_f32_e32 v106, v61, v106
	v_fmac_f32_e32 v124, 0xbeb58ec6, v76
	v_add_f32_e32 v3, v38, v3
	v_add_f32_e32 v106, v124, v106
	v_mul_f32_e32 v124, 0xbe750f2a, v90
	v_add_f32_e32 v3, v32, v3
	v_mov_b32_e32 v125, v124
	v_add_f32_e32 v3, v34, v3
	v_fmac_f32_e32 v125, 0xbf788fa5, v78
	v_add_f32_e32 v0, v0, v3
	v_fmac_f32_e32 v94, 0xbf7e222b, v75
	v_add_f32_e32 v106, v125, v106
	v_mul_f32_e32 v125, 0x3f29c268, v92
	v_add_f32_e32 v0, v2, v0
	v_add_f32_e32 v2, v62, v94
	v_fmac_f32_e32 v98, 0xbe750f2a, v77
	v_mov_b32_e32 v126, v125
	v_add_f32_e32 v2, v98, v2
	v_fmac_f32_e32 v100, 0x3f6f5d39, v79
	v_fmac_f32_e32 v126, 0xbf3f9e67, v80
	v_add_f32_e32 v2, v100, v2
	v_fmac_f32_e32 v108, 0x3eedf032, v81
	v_add_f32_e32 v106, v126, v106
	v_mul_f32_e32 v126, 0x3f7e222b, v95
	v_add_f32_e32 v2, v108, v2
	v_fmac_f32_e32 v109, 0xbf52af12, v85
	v_mov_b32_e32 v127, v126
	v_add_f32_e32 v2, v109, v2
	v_fmac_f32_e32 v110, 0xbf29c268, v89
	v_fmac_f32_e32 v127, 0x3df6dbef, v83
	v_add_f32_e32 v3, v110, v2
	v_fma_f32 v2, v74, s11, -v96
	v_add_f32_e32 v106, v127, v106
	v_mul_f32_e32 v127, 0x3eedf032, v99
	v_add_f32_e32 v2, v61, v2
	v_fma_f32 v32, v76, s10, -v111
	v_mov_b32_e32 v128, v127
	v_add_f32_e32 v2, v32, v2
	v_fma_f32 v32, v78, s8, -v112
	v_fmac_f32_e32 v128, 0x3f62ad3f, v87
	v_mul_f32_e32 v84, 0x3f62ad3f, v84
	v_add_f32_e32 v2, v32, v2
	v_fma_f32 v32, v80, s16, -v113
	v_add_f32_e32 v106, v128, v106
	v_mov_b32_e32 v128, v84
	v_mul_f32_e32 v88, 0x3f116cb1, v88
	v_add_f32_e32 v2, v32, v2
	v_fma_f32 v32, v83, s17, -v114
	v_fmac_f32_e32 v128, 0x3eedf032, v75
	v_mov_b32_e32 v129, v88
	v_add_f32_e32 v2, v32, v2
	v_fma_f32 v32, v87, s9, -v115
	v_fmac_f32_e32 v116, 0xbf52af12, v75
	v_add_f32_e32 v128, v62, v128
	v_fmac_f32_e32 v129, 0x3f52af12, v77
	v_add_f32_e32 v2, v32, v2
	v_add_f32_e32 v32, v62, v116
	v_fmac_f32_e32 v117, 0xbf6f5d39, v77
	v_add_f32_e32 v128, v129, v128
	v_mul_f32_e32 v129, 0x3df6dbef, v91
	v_add_f32_e32 v32, v117, v32
	v_fmac_f32_e32 v118, 0xbe750f2a, v79
	v_mov_b32_e32 v91, v129
	v_add_f32_e32 v32, v118, v32
	v_fmac_f32_e32 v119, 0x3f29c268, v81
	v_fmac_f32_e32 v91, 0x3f7e222b, v79
	v_mul_f32_e32 v93, 0xbeb58ec6, v93
	v_add_f32_e32 v32, v119, v32
	v_fmac_f32_e32 v120, 0x3f7e222b, v85
	v_add_f32_e32 v91, v91, v128
	v_mov_b32_e32 v128, v93
	v_add_f32_e32 v32, v120, v32
	v_fmac_f32_e32 v121, 0x3eedf032, v89
	v_fmac_f32_e32 v128, 0x3f6f5d39, v81
	v_mul_f32_e32 v97, 0xbf3f9e67, v97
	v_add_f32_e32 v33, v121, v32
	v_fma_f32 v32, v74, s17, -v122
	v_add_f32_e32 v91, v128, v91
	v_mov_b32_e32 v128, v97
	v_add_f32_e32 v32, v61, v32
	v_fma_f32 v34, v76, s8, -v123
	v_fmac_f32_e32 v128, 0x3f29c268, v85
	v_mul_f32_e32 v101, 0xbf788fa5, v101
	v_add_f32_e32 v32, v34, v32
	v_fma_f32 v34, v78, s10, -v124
	v_add_f32_e32 v91, v128, v91
	v_mov_b32_e32 v128, v101
	v_add_f32_e32 v32, v34, v32
	v_fma_f32 v34, v80, s9, -v125
	v_fmac_f32_e32 v128, 0x3e750f2a, v89
	v_mul_f32_e32 v82, 0xbeedf032, v82
	v_add_f32_e32 v32, v34, v32
	v_fma_f32 v34, v83, s11, -v126
	v_add_f32_e32 v91, v128, v91
	v_mov_b32_e32 v128, v82
	v_mul_f32_e32 v86, 0xbf52af12, v86
	v_add_f32_e32 v32, v34, v32
	v_fma_f32 v34, v87, s16, -v127
	v_fmac_f32_e32 v84, 0xbeedf032, v75
	v_fmac_f32_e32 v128, 0x3f62ad3f, v74
	v_mov_b32_e32 v130, v86
	v_add_f32_e32 v32, v34, v32
	v_add_f32_e32 v34, v62, v84
	v_fmac_f32_e32 v88, 0xbf52af12, v77
	v_add_f32_e32 v128, v61, v128
	v_fmac_f32_e32 v130, 0x3f116cb1, v76
	;; [unrolled: 2-line block ×3, first 2 shown]
	v_add_f32_e32 v128, v130, v128
	v_mul_f32_e32 v130, 0xbf7e222b, v90
	v_add_f32_e32 v34, v129, v34
	v_fmac_f32_e32 v93, 0xbf6f5d39, v81
	v_mov_b32_e32 v90, v130
	v_add_f32_e32 v34, v93, v34
	v_fmac_f32_e32 v97, 0xbf29c268, v85
	v_fmac_f32_e32 v90, 0x3df6dbef, v78
	v_mul_f32_e32 v92, 0xbf6f5d39, v92
	v_add_f32_e32 v34, v97, v34
	v_fmac_f32_e32 v101, 0xbe750f2a, v89
	v_add_f32_e32 v90, v90, v128
	v_mov_b32_e32 v128, v92
	v_add_f32_e32 v35, v101, v34
	v_fma_f32 v34, v74, s16, -v82
	v_fmac_f32_e32 v128, 0xbeb58ec6, v80
	v_mul_f32_e32 v95, 0xbf29c268, v95
	v_add_f32_e32 v34, v61, v34
	v_fma_f32 v36, v76, s17, -v86
	v_add_f32_e32 v90, v128, v90
	v_mov_b32_e32 v128, v95
	v_add_f32_e32 v34, v36, v34
	v_fma_f32 v36, v78, s11, -v130
	v_fmac_f32_e32 v128, 0xbf3f9e67, v83
	v_mul_f32_e32 v99, 0xbe750f2a, v99
	v_add_f32_e32 v34, v36, v34
	v_fma_f32 v36, v80, s8, -v92
	v_add_f32_e32 v90, v128, v90
	v_mov_b32_e32 v128, v99
	v_add_f32_e32 v34, v36, v34
	v_fma_f32 v36, v83, s9, -v95
	v_fmac_f32_e32 v128, 0xbf788fa5, v87
	v_add_f32_e32 v34, v36, v34
	v_fma_f32 v36, v87, s10, -v99
	v_add_f32_e32 v90, v128, v90
	v_add_f32_e32 v34, v36, v34
	v_lshl_add_u32 v36, v69, 3, v67
	ds_write2_b64 v36, v[0:1], v[90:91] offset1:1
	ds_write2_b64 v36, v[106:107], v[104:105] offset0:2 offset1:3
	ds_write2_b64 v36, v[102:103], v[63:64] offset0:4 offset1:5
	;; [unrolled: 1-line block ×5, first 2 shown]
	ds_write_b64 v36, v[34:35] offset:96
.LBB0_17:
	s_or_b64 exec, exec, s[2:3]
	v_add_u32_e32 v32, 0x400, v68
	s_waitcnt lgkmcnt(0)
	s_barrier
	ds_read2_b64 v[0:3], v68 offset1:91
	ds_read2_b64 v[32:35], v32 offset0:54 offset1:145
	ds_read_b64 v[36:37], v68 offset:2912
	s_and_saveexec_b64 s[2:3], s[0:1]
	s_cbranch_execz .LBB0_19
; %bb.18:
	v_add_u32_e32 v38, 0x800, v68
	ds_read_b64 v[63:64], v68 offset:520
	ds_read2_b64 v[56:59], v68 offset0:156 offset1:247
	ds_read2_b64 v[52:55], v38 offset0:82 offset1:173
.LBB0_19:
	s_or_b64 exec, exec, s[2:3]
	s_waitcnt lgkmcnt(2)
	v_mul_f32_e32 v38, v17, v3
	v_fmac_f32_e32 v38, v16, v2
	v_mul_f32_e32 v2, v17, v2
	v_fma_f32 v39, v16, v3, -v2
	s_waitcnt lgkmcnt(1)
	v_mul_f32_e32 v17, v19, v33
	v_mul_f32_e32 v2, v19, v32
	;; [unrolled: 1-line block ×3, first 2 shown]
	v_fmac_f32_e32 v17, v18, v32
	v_fma_f32 v18, v18, v33, -v2
	v_fmac_f32_e32 v19, v12, v34
	v_mul_f32_e32 v2, v13, v34
	v_fma_f32 v32, v12, v35, -v2
	s_waitcnt lgkmcnt(0)
	v_mul_f32_e32 v2, v15, v36
	v_add_f32_e32 v3, v17, v19
	v_mul_f32_e32 v33, v15, v37
	v_fma_f32 v34, v14, v37, -v2
	v_fma_f32 v12, -0.5, v3, v0
	v_fmac_f32_e32 v33, v14, v36
	v_sub_f32_e32 v3, v39, v34
	v_mov_b32_e32 v14, v12
	v_fmac_f32_e32 v14, 0xbf737871, v3
	v_sub_f32_e32 v13, v18, v32
	v_sub_f32_e32 v15, v38, v17
	;; [unrolled: 1-line block ×3, first 2 shown]
	v_fmac_f32_e32 v12, 0x3f737871, v3
	v_fmac_f32_e32 v14, 0xbf167918, v13
	v_add_f32_e32 v15, v15, v16
	v_fmac_f32_e32 v12, 0x3f167918, v13
	v_fmac_f32_e32 v14, 0x3e9e377a, v15
	v_fmac_f32_e32 v12, 0x3e9e377a, v15
	v_add_f32_e32 v15, v38, v33
	v_add_f32_e32 v2, v0, v38
	v_fma_f32 v0, -0.5, v15, v0
	v_mov_b32_e32 v16, v0
	v_add_f32_e32 v2, v2, v17
	v_fmac_f32_e32 v16, 0x3f737871, v13
	v_sub_f32_e32 v15, v17, v38
	v_sub_f32_e32 v35, v19, v33
	v_fmac_f32_e32 v0, 0xbf737871, v13
	v_add_f32_e32 v13, v18, v32
	v_add_f32_e32 v2, v2, v19
	v_fmac_f32_e32 v16, 0xbf167918, v3
	v_add_f32_e32 v15, v15, v35
	v_fmac_f32_e32 v0, 0x3f167918, v3
	v_fma_f32 v13, -0.5, v13, v1
	v_add_f32_e32 v2, v2, v33
	v_fmac_f32_e32 v16, 0x3e9e377a, v15
	v_fmac_f32_e32 v0, 0x3e9e377a, v15
	v_sub_f32_e32 v33, v38, v33
	v_mov_b32_e32 v15, v13
	v_fmac_f32_e32 v15, 0x3f737871, v33
	v_sub_f32_e32 v19, v17, v19
	v_sub_f32_e32 v17, v39, v18
	;; [unrolled: 1-line block ×3, first 2 shown]
	v_fmac_f32_e32 v13, 0xbf737871, v33
	v_fmac_f32_e32 v15, 0x3f167918, v19
	v_add_f32_e32 v17, v17, v35
	v_fmac_f32_e32 v13, 0xbf167918, v19
	v_fmac_f32_e32 v15, 0x3e9e377a, v17
	;; [unrolled: 1-line block ×3, first 2 shown]
	v_add_f32_e32 v17, v39, v34
	v_add_f32_e32 v3, v1, v39
	v_fma_f32 v1, -0.5, v17, v1
	v_add_f32_e32 v3, v3, v18
	v_mov_b32_e32 v17, v1
	v_add_f32_e32 v3, v3, v32
	v_fmac_f32_e32 v17, 0xbf737871, v19
	v_sub_f32_e32 v18, v18, v39
	v_sub_f32_e32 v32, v32, v34
	v_fmac_f32_e32 v1, 0x3f737871, v19
	v_add_f32_e32 v3, v3, v34
	v_fmac_f32_e32 v17, 0x3f167918, v33
	v_add_f32_e32 v18, v18, v32
	v_fmac_f32_e32 v1, 0xbf167918, v33
	v_fmac_f32_e32 v17, 0x3e9e377a, v18
	;; [unrolled: 1-line block ×3, first 2 shown]
	s_barrier
	ds_write2_b64 v73, v[2:3], v[14:15] offset1:13
	ds_write2_b64 v73, v[16:17], v[0:1] offset0:26 offset1:39
	ds_write_b64 v73, v[12:13] offset:416
	s_and_saveexec_b64 s[2:3], s[0:1]
	s_cbranch_execz .LBB0_21
; %bb.20:
	v_mul_f32_e32 v0, v9, v56
	v_mul_f32_e32 v1, v7, v54
	v_fma_f32 v12, v8, v57, -v0
	v_mul_f32_e32 v0, v11, v58
	v_fma_f32 v14, v6, v55, -v1
	v_mul_f32_e32 v1, v5, v52
	v_mul_f32_e32 v11, v11, v59
	v_fma_f32 v13, v10, v59, -v0
	v_fma_f32 v15, v4, v53, -v1
	v_fmac_f32_e32 v11, v10, v58
	v_mul_f32_e32 v10, v5, v53
	v_sub_f32_e32 v0, v12, v13
	v_sub_f32_e32 v1, v14, v15
	v_fmac_f32_e32 v10, v4, v52
	v_mul_f32_e32 v9, v9, v57
	v_add_f32_e32 v4, v12, v64
	v_add_f32_e32 v16, v1, v0
	v_fmac_f32_e32 v9, v8, v56
	v_mul_f32_e32 v8, v7, v55
	v_add_f32_e32 v0, v13, v15
	v_sub_f32_e32 v32, v13, v15
	v_add_f32_e32 v4, v13, v4
	v_sub_f32_e32 v7, v13, v12
	v_sub_f32_e32 v13, v15, v14
	v_add_f32_e32 v13, v13, v7
	v_add_f32_e32 v7, v14, v12
	v_fma_f32 v1, -0.5, v0, v64
	v_add_f32_e32 v4, v15, v4
	v_fmac_f32_e32 v64, -0.5, v7
	v_sub_f32_e32 v17, v11, v10
	v_fmac_f32_e32 v8, v6, v54
	v_add_f32_e32 v5, v14, v4
	v_add_f32_e32 v4, v63, v9
	v_mov_b32_e32 v7, v64
	v_sub_f32_e32 v6, v9, v8
	v_mov_b32_e32 v3, v1
	v_sub_f32_e32 v0, v9, v11
	v_sub_f32_e32 v2, v8, v10
	v_add_f32_e32 v4, v11, v4
	v_fmac_f32_e32 v7, 0x3f737871, v17
	v_fmac_f32_e32 v64, 0xbf737871, v17
	;; [unrolled: 1-line block ×3, first 2 shown]
	v_add_f32_e32 v18, v2, v0
	v_add_f32_e32 v0, v11, v10
	;; [unrolled: 1-line block ×3, first 2 shown]
	v_fmac_f32_e32 v7, 0xbf167918, v6
	v_fmac_f32_e32 v64, 0x3f167918, v6
	;; [unrolled: 1-line block ×3, first 2 shown]
	v_sub_f32_e32 v6, v11, v9
	v_sub_f32_e32 v10, v10, v8
	v_fma_f32 v0, -0.5, v0, v63
	v_add_f32_e32 v10, v10, v6
	v_add_f32_e32 v6, v8, v9
	v_sub_f32_e32 v19, v12, v14
	v_mov_b32_e32 v2, v0
	v_fmac_f32_e32 v63, -0.5, v6
	v_fmac_f32_e32 v2, 0xbf737871, v19
	v_add_f32_e32 v4, v8, v4
	v_mov_b32_e32 v6, v63
	v_mul_u32_u24_e32 v8, 0x41, v70
	v_fmac_f32_e32 v3, 0x3f167918, v17
	v_fmac_f32_e32 v2, 0xbf167918, v32
	;; [unrolled: 1-line block ×5, first 2 shown]
	v_add_u32_sdwa v8, v8, v71 dst_sel:DWORD dst_unused:UNUSED_PAD src0_sel:DWORD src1_sel:BYTE_0
	v_fmac_f32_e32 v3, 0x3e9e377a, v16
	v_fmac_f32_e32 v2, 0x3e9e377a, v18
	;; [unrolled: 1-line block ×6, first 2 shown]
	v_lshl_add_u32 v8, v8, 3, v67
	v_fmac_f32_e32 v7, 0x3e9e377a, v13
	v_fmac_f32_e32 v64, 0x3e9e377a, v13
	;; [unrolled: 1-line block ×6, first 2 shown]
	ds_write2_b64 v8, v[4:5], v[2:3] offset1:13
	ds_write2_b64 v8, v[63:64], v[6:7] offset0:26 offset1:39
	ds_write_b64 v8, v[0:1] offset:416
.LBB0_21:
	s_or_b64 exec, exec, s[2:3]
	s_waitcnt lgkmcnt(0)
	s_barrier
	ds_read_b64 v[12:13], v68
	ds_read2_b64 v[0:3], v68 offset0:65 offset1:130
	v_add_u32_e32 v4, 0x400, v68
	ds_read2_b64 v[4:7], v4 offset0:67 offset1:132
	v_add_u32_e32 v8, 0x800, v68
	ds_read2_b64 v[8:11], v8 offset0:69 offset1:134
	s_waitcnt lgkmcnt(2)
	v_mul_f32_e32 v14, v29, v1
	v_fmac_f32_e32 v14, v28, v0
	v_mul_f32_e32 v0, v29, v0
	v_fma_f32 v0, v28, v1, -v0
	v_mul_f32_e32 v1, v31, v3
	v_fmac_f32_e32 v1, v30, v2
	v_mul_f32_e32 v2, v31, v2
	v_fma_f32 v2, v30, v3, -v2
	s_waitcnt lgkmcnt(1)
	v_mul_f32_e32 v3, v25, v5
	v_fmac_f32_e32 v3, v24, v4
	v_mul_f32_e32 v4, v25, v4
	v_fma_f32 v4, v24, v5, -v4
	v_mul_f32_e32 v5, v27, v7
	v_fmac_f32_e32 v5, v26, v6
	v_mul_f32_e32 v6, v27, v6
	v_fma_f32 v6, v26, v7, -v6
	;; [unrolled: 9-line block ×3, first 2 shown]
	v_add_f32_e32 v11, v14, v9
	v_add_f32_e32 v15, v0, v10
	v_sub_f32_e32 v0, v0, v10
	v_add_f32_e32 v10, v1, v7
	v_sub_f32_e32 v9, v14, v9
	;; [unrolled: 2-line block ×3, first 2 shown]
	v_sub_f32_e32 v2, v2, v8
	v_add_f32_e32 v7, v3, v5
	v_add_f32_e32 v8, v4, v6
	v_sub_f32_e32 v3, v5, v3
	v_sub_f32_e32 v4, v6, v4
	v_add_f32_e32 v5, v10, v11
	v_add_f32_e32 v6, v14, v15
	;; [unrolled: 1-line block ×4, first 2 shown]
	v_sub_f32_e32 v17, v14, v15
	v_sub_f32_e32 v15, v15, v8
	;; [unrolled: 1-line block ×3, first 2 shown]
	v_add_f32_e32 v18, v3, v1
	v_sub_f32_e32 v21, v4, v2
	v_sub_f32_e32 v4, v0, v4
	;; [unrolled: 1-line block ×3, first 2 shown]
	v_add_f32_e32 v6, v8, v6
	v_add_f32_e32 v8, v19, v0
	;; [unrolled: 1-line block ×3, first 2 shown]
	v_sub_f32_e32 v16, v10, v11
	v_sub_f32_e32 v11, v11, v7
	;; [unrolled: 1-line block ×5, first 2 shown]
	v_add_f32_e32 v7, v18, v9
	v_add_f32_e32 v1, v13, v6
	v_mul_f32_e32 v18, 0x3f08b237, v21
	v_mov_b32_e32 v21, v0
	v_mul_f32_e32 v12, 0x3d64c772, v10
	v_mul_f32_e32 v13, 0x3d64c772, v14
	v_fmac_f32_e32 v21, 0xbf955555, v5
	v_mov_b32_e32 v5, v1
	s_mov_b32 s1, 0x3f3bfb3b
	v_sub_f32_e32 v3, v9, v3
	v_mul_f32_e32 v9, 0x3f4a47b2, v11
	v_mul_f32_e32 v11, 0x3f4a47b2, v15
	;; [unrolled: 1-line block ×3, first 2 shown]
	s_mov_b32 s0, 0xbf5ff5aa
	v_fmac_f32_e32 v5, 0xbf955555, v6
	v_fma_f32 v6, v16, s1, -v12
	v_fma_f32 v12, v17, s1, -v13
	s_mov_b32 s1, 0xbf3bfb3b
	v_mul_f32_e32 v19, 0xbf5ff5aa, v22
	v_mul_f32_e32 v20, 0xbf5ff5aa, v2
	v_fma_f32 v13, v16, s1, -v9
	v_fmac_f32_e32 v9, 0x3d64c772, v10
	v_fma_f32 v10, v17, s1, -v11
	v_fmac_f32_e32 v11, 0x3d64c772, v14
	v_fma_f32 v14, v22, s0, -v15
	v_fma_f32 v16, v2, s0, -v18
	s_mov_b32 s0, 0x3eae86e6
	v_fmac_f32_e32 v15, 0xbeae86e6, v3
	v_fmac_f32_e32 v18, 0xbeae86e6, v4
	v_fma_f32 v17, v3, s0, -v19
	v_fma_f32 v19, v4, s0, -v20
	v_add_f32_e32 v20, v9, v21
	v_add_f32_e32 v22, v11, v5
	;; [unrolled: 1-line block ×6, first 2 shown]
	v_fmac_f32_e32 v15, 0xbee1c552, v7
	v_fmac_f32_e32 v18, 0xbee1c552, v8
	;; [unrolled: 1-line block ×6, first 2 shown]
	v_add_f32_e32 v2, v18, v20
	v_sub_f32_e32 v3, v22, v15
	v_add_f32_e32 v4, v19, v12
	v_sub_f32_e32 v5, v13, v17
	v_sub_f32_e32 v6, v9, v16
	v_add_f32_e32 v7, v14, v11
	v_add_f32_e32 v8, v16, v9
	v_sub_f32_e32 v9, v11, v14
	v_sub_f32_e32 v10, v12, v19
	v_add_f32_e32 v11, v17, v13
	v_sub_f32_e32 v12, v20, v18
	v_add_f32_e32 v13, v15, v22
	ds_write_b64 v72, v[0:1]
	ds_write2_b64 v72, v[2:3], v[4:5] offset0:65 offset1:130
	v_add_u32_e32 v1, 0x400, v72
	v_add_u32_e32 v0, 0x800, v72
	ds_write2_b64 v1, v[6:7], v[8:9] offset0:67 offset1:132
	ds_write2_b64 v0, v[10:11], v[12:13] offset0:69 offset1:134
	s_waitcnt lgkmcnt(0)
	s_barrier
	s_and_b64 exec, exec, vcc
	s_cbranch_execz .LBB0_23
; %bb.22:
	global_load_dwordx2 v[10:11], v65, s[12:13]
	global_load_dwordx2 v[12:13], v65, s[12:13] offset:280
	global_load_dwordx2 v[14:15], v65, s[12:13] offset:560
	global_load_dwordx2 v[16:17], v65, s[12:13] offset:840
	global_load_dwordx2 v[18:19], v65, s[12:13] offset:1120
	ds_read_b64 v[22:23], v72
	ds_read2_b64 v[2:5], v72 offset0:35 offset1:70
	ds_read2_b64 v[6:9], v72 offset0:105 offset1:140
	global_load_dwordx2 v[26:27], v65, s[12:13] offset:1400
	global_load_dwordx2 v[28:29], v65, s[12:13] offset:1680
	global_load_dwordx2 v[30:31], v65, s[12:13] offset:1960
	global_load_dwordx2 v[32:33], v65, s[12:13] offset:2240
	global_load_dwordx2 v[34:35], v65, s[12:13] offset:2520
	v_mad_u64_u32 v[20:21], s[0:1], s6, v60, 0
	v_mad_u64_u32 v[24:25], s[2:3], s4, v66, 0
	s_mul_i32 s3, s5, 0x118
	s_mul_hi_u32 s6, s4, 0x118
	s_add_i32 s3, s6, s3
	s_waitcnt lgkmcnt(2)
	v_mad_u64_u32 v[36:37], s[6:7], s7, v60, v[21:22]
	s_mul_i32 s2, s4, 0x118
	v_mov_b32_e32 v39, s15
	v_mov_b32_e32 v21, v36
	v_lshlrev_b64 v[20:21], 3, v[20:21]
	v_mov_b32_e32 v40, s3
	v_add_co_u32_e32 v20, vcc, s14, v20
	v_addc_co_u32_e32 v21, vcc, v39, v21, vcc
	s_mov_b32 s0, 0x12012012
	s_mov_b32 s1, 0x3f620120
	v_mov_b32_e32 v41, s3
	s_waitcnt vmcnt(8) lgkmcnt(1)
	v_mul_f32_e32 v39, v3, v13
	v_mul_f32_e32 v13, v2, v13
	s_waitcnt vmcnt(6) lgkmcnt(0)
	v_mul_f32_e32 v42, v7, v17
	s_waitcnt vmcnt(4)
	v_mad_u64_u32 v[37:38], s[4:5], s5, v66, v[25:26]
	v_mov_b32_e32 v38, s3
	v_mul_f32_e32 v17, v6, v17
	v_mov_b32_e32 v25, v37
	v_lshlrev_b64 v[24:25], 3, v[24:25]
	v_fmac_f32_e32 v39, v2, v12
	v_add_co_u32_e32 v20, vcc, v20, v24
	v_addc_co_u32_e32 v21, vcc, v21, v25, vcc
	v_add_co_u32_e32 v24, vcc, s2, v20
	v_addc_co_u32_e32 v25, vcc, v21, v40, vcc
	;; [unrolled: 2-line block ×3, first 2 shown]
	v_mul_f32_e32 v38, v23, v11
	v_mul_f32_e32 v11, v22, v11
	;; [unrolled: 1-line block ×4, first 2 shown]
	v_fmac_f32_e32 v38, v22, v10
	v_fma_f32 v10, v10, v23, -v11
	v_fma_f32 v11, v12, v3, -v13
	v_fmac_f32_e32 v40, v4, v14
	v_fma_f32 v14, v14, v5, -v15
	v_cvt_f64_f32_e32 v[2:3], v38
	v_cvt_f64_f32_e32 v[4:5], v10
	v_fmac_f32_e32 v42, v6, v16
	v_fma_f32 v22, v16, v7, -v17
	v_cvt_f64_f32_e32 v[6:7], v39
	v_cvt_f64_f32_e32 v[10:11], v11
	;; [unrolled: 1-line block ×4, first 2 shown]
	v_mul_f64 v[2:3], v[2:3], s[0:1]
	v_mul_f64 v[4:5], v[4:5], s[0:1]
	;; [unrolled: 1-line block ×6, first 2 shown]
	v_mul_f32_e32 v43, v9, v19
	v_fmac_f32_e32 v43, v8, v18
	v_cvt_f64_f32_e32 v[16:17], v42
	v_cvt_f64_f32_e32 v[22:23], v22
	;; [unrolled: 1-line block ×3, first 2 shown]
	v_cvt_f32_f64_e32 v2, v[2:3]
	v_cvt_f32_f64_e32 v3, v[4:5]
	;; [unrolled: 1-line block ×6, first 2 shown]
	v_mul_f64 v[16:17], v[16:17], s[0:1]
	v_mul_f64 v[22:23], v[22:23], s[0:1]
	global_store_dwordx2 v[20:21], v[2:3], off
	global_store_dwordx2 v[24:25], v[4:5], off
	;; [unrolled: 1-line block ×3, first 2 shown]
	v_mul_f64 v[6:7], v[38:39], s[0:1]
	v_mul_f32_e32 v2, v8, v19
	v_fma_f32 v2, v18, v9, -v2
	v_cvt_f64_f32_e32 v[8:9], v2
	ds_read2_b64 v[2:5], v72 offset0:175 offset1:210
	v_cvt_f32_f64_e32 v10, v[16:17]
	v_cvt_f32_f64_e32 v11, v[22:23]
	v_add_co_u32_e32 v12, vcc, s2, v36
	v_cvt_f32_f64_e32 v6, v[6:7]
	v_mul_f64 v[7:8], v[8:9], s[0:1]
	s_waitcnt lgkmcnt(0)
	v_mul_f32_e32 v9, v3, v27
	v_addc_co_u32_e32 v13, vcc, v37, v41, vcc
	v_fmac_f32_e32 v9, v2, v26
	global_store_dwordx2 v[12:13], v[10:11], off
	v_cvt_f64_f32_e32 v[9:10], v9
	global_load_dwordx2 v[14:15], v65, s[12:13] offset:2800
	v_cvt_f32_f64_e32 v7, v[7:8]
	v_mov_b32_e32 v11, s3
	v_mul_f64 v[8:9], v[9:10], s[0:1]
	v_add_co_u32_e32 v10, vcc, s2, v12
	v_addc_co_u32_e32 v11, vcc, v13, v11, vcc
	global_store_dwordx2 v[10:11], v[6:7], off
	v_mul_f32_e32 v2, v2, v27
	v_fma_f32 v2, v26, v3, -v2
	v_cvt_f32_f64_e32 v6, v[8:9]
	global_load_dwordx2 v[8:9], v65, s[12:13] offset:3080
	v_cvt_f64_f32_e32 v[2:3], v2
	v_mov_b32_e32 v18, s3
	v_add_co_u32_e32 v10, vcc, s2, v10
	v_mul_f64 v[2:3], v[2:3], s[0:1]
	v_addc_co_u32_e32 v11, vcc, v11, v18, vcc
	v_cvt_f32_f64_e32 v7, v[2:3]
	s_waitcnt vmcnt(10)
	v_mul_f32_e32 v2, v5, v29
	v_fmac_f32_e32 v2, v4, v28
	v_cvt_f64_f32_e32 v[12:13], v2
	v_mul_f32_e32 v2, v4, v29
	v_fma_f32 v2, v28, v5, -v2
	v_cvt_f64_f32_e32 v[16:17], v2
	ds_read2_b64 v[1:4], v1 offset0:117 offset1:152
	global_store_dwordx2 v[10:11], v[6:7], off
	v_mul_f64 v[5:6], v[12:13], s[0:1]
	v_mul_f64 v[12:13], v[16:17], s[0:1]
	v_add_co_u32_e32 v10, vcc, s2, v10
	s_waitcnt vmcnt(10) lgkmcnt(0)
	v_mul_f32_e32 v7, v2, v31
	v_fmac_f32_e32 v7, v1, v30
	v_mul_f32_e32 v1, v1, v31
	v_fma_f32 v1, v30, v2, -v1
	v_cvt_f64_f32_e32 v[1:2], v1
	v_cvt_f64_f32_e32 v[16:17], v7
	v_cvt_f32_f64_e32 v5, v[5:6]
	v_cvt_f32_f64_e32 v6, v[12:13]
	v_mul_f64 v[1:2], v[1:2], s[0:1]
	v_mul_f64 v[12:13], v[16:17], s[0:1]
	v_mov_b32_e32 v7, s3
	v_addc_co_u32_e32 v11, vcc, v11, v7, vcc
	global_store_dwordx2 v[10:11], v[5:6], off
	v_add_co_u32_e32 v10, vcc, s2, v10
	v_cvt_f32_f64_e32 v6, v[1:2]
	s_waitcnt vmcnt(10)
	v_mul_f32_e32 v1, v4, v33
	v_fmac_f32_e32 v1, v3, v32
	v_cvt_f32_f64_e32 v5, v[12:13]
	v_cvt_f64_f32_e32 v[12:13], v1
	v_mul_f32_e32 v1, v3, v33
	v_fma_f32 v1, v32, v4, -v1
	v_cvt_f64_f32_e32 v[16:17], v1
	ds_read2_b64 v[1:4], v0 offset0:59 offset1:94
	v_addc_co_u32_e32 v11, vcc, v11, v7, vcc
	global_store_dwordx2 v[10:11], v[5:6], off
	v_mul_f64 v[5:6], v[12:13], s[0:1]
	s_waitcnt vmcnt(10) lgkmcnt(0)
	v_mul_f32_e32 v7, v2, v35
	v_mul_f64 v[12:13], v[16:17], s[0:1]
	v_fmac_f32_e32 v7, v1, v34
	v_mul_f32_e32 v1, v1, v35
	v_fma_f32 v1, v34, v2, -v1
	v_cvt_f64_f32_e32 v[1:2], v1
	v_cvt_f64_f32_e32 v[16:17], v7
	v_cvt_f32_f64_e32 v5, v[5:6]
	v_mov_b32_e32 v7, s3
	v_mul_f64 v[1:2], v[1:2], s[0:1]
	v_cvt_f32_f64_e32 v6, v[12:13]
	v_mul_f64 v[12:13], v[16:17], s[0:1]
	v_add_co_u32_e32 v10, vcc, s2, v10
	v_addc_co_u32_e32 v11, vcc, v11, v7, vcc
	global_store_dwordx2 v[10:11], v[5:6], off
	v_cvt_f32_f64_e32 v6, v[1:2]
	s_waitcnt vmcnt(6)
	v_mul_f32_e32 v1, v4, v15
	v_fmac_f32_e32 v1, v3, v14
	v_cvt_f32_f64_e32 v5, v[12:13]
	v_cvt_f64_f32_e32 v[12:13], v1
	v_mul_f32_e32 v1, v3, v15
	v_fma_f32 v1, v14, v4, -v1
	v_cvt_f64_f32_e32 v[14:15], v1
	ds_read2_b64 v[0:3], v0 offset0:129 offset1:164
	v_add_co_u32_e32 v10, vcc, s2, v10
	v_addc_co_u32_e32 v11, vcc, v11, v7, vcc
	global_store_dwordx2 v[10:11], v[5:6], off
	v_mul_f64 v[4:5], v[12:13], s[0:1]
	v_mul_f64 v[6:7], v[14:15], s[0:1]
	s_waitcnt vmcnt(5) lgkmcnt(0)
	v_mul_f32_e32 v12, v1, v9
	v_fmac_f32_e32 v12, v0, v8
	v_mul_f32_e32 v0, v0, v9
	v_fma_f32 v0, v8, v1, -v0
	v_cvt_f64_f32_e32 v[12:13], v12
	v_cvt_f64_f32_e32 v[0:1], v0
	v_cvt_f32_f64_e32 v4, v[4:5]
	v_cvt_f32_f64_e32 v5, v[6:7]
	v_mul_f64 v[6:7], v[12:13], s[0:1]
	v_mul_f64 v[0:1], v[0:1], s[0:1]
	v_mov_b32_e32 v9, s3
	v_add_co_u32_e32 v8, vcc, s2, v10
	v_addc_co_u32_e32 v9, vcc, v11, v9, vcc
	global_store_dwordx2 v[8:9], v[4:5], off
	v_cvt_f32_f64_e32 v4, v[6:7]
	v_cvt_f32_f64_e32 v5, v[0:1]
	v_mov_b32_e32 v1, s3
	v_add_co_u32_e32 v0, vcc, s2, v8
	v_addc_co_u32_e32 v1, vcc, v9, v1, vcc
	global_store_dwordx2 v[0:1], v[4:5], off
	global_load_dwordx2 v[4:5], v65, s[12:13] offset:3360
	v_add_co_u32_e32 v0, vcc, s2, v0
	s_waitcnt vmcnt(0)
	v_mul_f32_e32 v6, v3, v5
	v_fmac_f32_e32 v6, v2, v4
	v_mul_f32_e32 v2, v2, v5
	v_fma_f32 v2, v4, v3, -v2
	v_cvt_f64_f32_e32 v[6:7], v6
	v_cvt_f64_f32_e32 v[2:3], v2
	v_mul_f64 v[4:5], v[6:7], s[0:1]
	v_mul_f64 v[2:3], v[2:3], s[0:1]
	v_cvt_f32_f64_e32 v4, v[4:5]
	v_cvt_f32_f64_e32 v5, v[2:3]
	v_mov_b32_e32 v2, s3
	v_addc_co_u32_e32 v1, vcc, v1, v2, vcc
	global_store_dwordx2 v[0:1], v[4:5], off
.LBB0_23:
	s_endpgm
	.section	.rodata,"a",@progbits
	.p2align	6, 0x0
	.amdhsa_kernel bluestein_single_back_len455_dim1_sp_op_CI_CI
		.amdhsa_group_segment_fixed_size 10920
		.amdhsa_private_segment_fixed_size 0
		.amdhsa_kernarg_size 104
		.amdhsa_user_sgpr_count 6
		.amdhsa_user_sgpr_private_segment_buffer 1
		.amdhsa_user_sgpr_dispatch_ptr 0
		.amdhsa_user_sgpr_queue_ptr 0
		.amdhsa_user_sgpr_kernarg_segment_ptr 1
		.amdhsa_user_sgpr_dispatch_id 0
		.amdhsa_user_sgpr_flat_scratch_init 0
		.amdhsa_user_sgpr_private_segment_size 0
		.amdhsa_uses_dynamic_stack 0
		.amdhsa_system_sgpr_private_segment_wavefront_offset 0
		.amdhsa_system_sgpr_workgroup_id_x 1
		.amdhsa_system_sgpr_workgroup_id_y 0
		.amdhsa_system_sgpr_workgroup_id_z 0
		.amdhsa_system_sgpr_workgroup_info 0
		.amdhsa_system_vgpr_workitem_id 0
		.amdhsa_next_free_vgpr 131
		.amdhsa_next_free_sgpr 18
		.amdhsa_reserve_vcc 1
		.amdhsa_reserve_flat_scratch 0
		.amdhsa_float_round_mode_32 0
		.amdhsa_float_round_mode_16_64 0
		.amdhsa_float_denorm_mode_32 3
		.amdhsa_float_denorm_mode_16_64 3
		.amdhsa_dx10_clamp 1
		.amdhsa_ieee_mode 1
		.amdhsa_fp16_overflow 0
		.amdhsa_exception_fp_ieee_invalid_op 0
		.amdhsa_exception_fp_denorm_src 0
		.amdhsa_exception_fp_ieee_div_zero 0
		.amdhsa_exception_fp_ieee_overflow 0
		.amdhsa_exception_fp_ieee_underflow 0
		.amdhsa_exception_fp_ieee_inexact 0
		.amdhsa_exception_int_div_zero 0
	.end_amdhsa_kernel
	.text
.Lfunc_end0:
	.size	bluestein_single_back_len455_dim1_sp_op_CI_CI, .Lfunc_end0-bluestein_single_back_len455_dim1_sp_op_CI_CI
                                        ; -- End function
	.section	.AMDGPU.csdata,"",@progbits
; Kernel info:
; codeLenInByte = 12820
; NumSgprs: 22
; NumVgprs: 131
; ScratchSize: 0
; MemoryBound: 0
; FloatMode: 240
; IeeeMode: 1
; LDSByteSize: 10920 bytes/workgroup (compile time only)
; SGPRBlocks: 2
; VGPRBlocks: 32
; NumSGPRsForWavesPerEU: 22
; NumVGPRsForWavesPerEU: 131
; Occupancy: 1
; WaveLimiterHint : 1
; COMPUTE_PGM_RSRC2:SCRATCH_EN: 0
; COMPUTE_PGM_RSRC2:USER_SGPR: 6
; COMPUTE_PGM_RSRC2:TRAP_HANDLER: 0
; COMPUTE_PGM_RSRC2:TGID_X_EN: 1
; COMPUTE_PGM_RSRC2:TGID_Y_EN: 0
; COMPUTE_PGM_RSRC2:TGID_Z_EN: 0
; COMPUTE_PGM_RSRC2:TIDIG_COMP_CNT: 0
	.type	__hip_cuid_83ca2242d2568fbd,@object ; @__hip_cuid_83ca2242d2568fbd
	.section	.bss,"aw",@nobits
	.globl	__hip_cuid_83ca2242d2568fbd
__hip_cuid_83ca2242d2568fbd:
	.byte	0                               ; 0x0
	.size	__hip_cuid_83ca2242d2568fbd, 1

	.ident	"AMD clang version 19.0.0git (https://github.com/RadeonOpenCompute/llvm-project roc-6.4.0 25133 c7fe45cf4b819c5991fe208aaa96edf142730f1d)"
	.section	".note.GNU-stack","",@progbits
	.addrsig
	.addrsig_sym __hip_cuid_83ca2242d2568fbd
	.amdgpu_metadata
---
amdhsa.kernels:
  - .args:
      - .actual_access:  read_only
        .address_space:  global
        .offset:         0
        .size:           8
        .value_kind:     global_buffer
      - .actual_access:  read_only
        .address_space:  global
        .offset:         8
        .size:           8
        .value_kind:     global_buffer
      - .actual_access:  read_only
        .address_space:  global
        .offset:         16
        .size:           8
        .value_kind:     global_buffer
      - .actual_access:  read_only
        .address_space:  global
        .offset:         24
        .size:           8
        .value_kind:     global_buffer
      - .actual_access:  read_only
        .address_space:  global
        .offset:         32
        .size:           8
        .value_kind:     global_buffer
      - .offset:         40
        .size:           8
        .value_kind:     by_value
      - .address_space:  global
        .offset:         48
        .size:           8
        .value_kind:     global_buffer
      - .address_space:  global
        .offset:         56
        .size:           8
        .value_kind:     global_buffer
      - .address_space:  global
        .offset:         64
        .size:           8
        .value_kind:     global_buffer
      - .address_space:  global
        .offset:         72
        .size:           8
        .value_kind:     global_buffer
      - .offset:         80
        .size:           4
        .value_kind:     by_value
      - .address_space:  global
        .offset:         88
        .size:           8
        .value_kind:     global_buffer
      - .address_space:  global
        .offset:         96
        .size:           8
        .value_kind:     global_buffer
    .group_segment_fixed_size: 10920
    .kernarg_segment_align: 8
    .kernarg_segment_size: 104
    .language:       OpenCL C
    .language_version:
      - 2
      - 0
    .max_flat_workgroup_size: 195
    .name:           bluestein_single_back_len455_dim1_sp_op_CI_CI
    .private_segment_fixed_size: 0
    .sgpr_count:     22
    .sgpr_spill_count: 0
    .symbol:         bluestein_single_back_len455_dim1_sp_op_CI_CI.kd
    .uniform_work_group_size: 1
    .uses_dynamic_stack: false
    .vgpr_count:     131
    .vgpr_spill_count: 0
    .wavefront_size: 64
amdhsa.target:   amdgcn-amd-amdhsa--gfx906
amdhsa.version:
  - 1
  - 2
...

	.end_amdgpu_metadata
